;; amdgpu-corpus repo=ANL-CESAR/RSBench kind=compiled arch=gfx1030 opt=O3
	.amdgcn_target "amdgcn-amd-amdhsa--gfx1030"
	.amdhsa_code_object_version 6
	.text
	.protected	_Z25xs_lookup_kernel_baseline5Input14SimulationData ; -- Begin function _Z25xs_lookup_kernel_baseline5Input14SimulationData
	.globl	_Z25xs_lookup_kernel_baseline5Input14SimulationData
	.p2align	8
	.type	_Z25xs_lookup_kernel_baseline5Input14SimulationData,@function
_Z25xs_lookup_kernel_baseline5Input14SimulationData: ; @_Z25xs_lookup_kernel_baseline5Input14SimulationData
; %bb.0:
	s_add_u32 s0, s0, s9
	s_clause 0x1
	s_load_dword s9, s[6:7], 0xfc
	s_load_dword s10, s[6:7], 0x8
	s_addc_u32 s1, s1, 0
	s_waitcnt lgkmcnt(0)
	s_and_b32 s9, s9, 0xffff
	v_mad_u64_u32 v[16:17], null, s8, s9, v[0:1]
	s_mov_b32 s8, exec_lo
	v_cmpx_gt_i32_e64 s10, v16
	s_cbranch_execz .LBB0_104
; %bb.1:
	s_clause 0x1
	s_load_dwordx2 s[8:9], s[6:7], 0x18
	s_load_dwordx4 s[12:15], s[6:7], 0xb0
                                        ; implicit-def: $vgpr104 : SGPR spill to VGPR lane
	v_mov_b32_e32 v3, 0x4a2bcaa7
	v_mov_b32_e32 v7, 0x45df23cb
	s_load_dwordx2 s[22:23], s[6:7], 0xe0
	s_waitcnt lgkmcnt(0)
	v_writelane_b32 v104, s8, 0
	v_writelane_b32 v104, s9, 1
	s_load_dwordx2 s[8:9], s[6:7], 0x40
	s_waitcnt lgkmcnt(0)
	v_writelane_b32 v104, s8, 2
	v_writelane_b32 v104, s9, 3
	;; [unrolled: 4-line block ×4, first 2 shown]
	s_clause 0x1
	s_load_dwordx2 s[8:9], s[6:7], 0x80
	s_load_dwordx2 s[10:11], s[6:7], 0x90
	s_waitcnt lgkmcnt(0)
	v_writelane_b32 v104, s10, 8
	v_writelane_b32 v104, s11, 9
	s_load_dwordx2 s[10:11], s[6:7], 0xa0
	s_waitcnt lgkmcnt(0)
	v_writelane_b32 v104, s10, 10
	v_writelane_b32 v104, s11, 11
	;; [unrolled: 1-line block ×6, first 2 shown]
	s_mov_b32 s13, 0
	s_mov_b32 s12, exec_lo
	v_cmpx_ne_u32_e32 0, v16
	s_cbranch_execz .LBB0_7
; %bb.2:
	v_lshlrev_b32_e32 v5, 1, v16
	v_mov_b32_e32 v3, 1
	v_mov_b32_e32 v7, 0
	v_mov_b32_e32 v4, 0
	v_mov_b32_e32 v8, 0
	v_ashrrev_i32_e32 v6, 31, v5
	s_mov_b32 s15, 0x26f19d38
	s_mov_b32 s14, 0xe48e2825
	s_mov_b64 s[10:11], 1
	v_and_b32_e32 v6, 0x7fffffff, v6
	s_inst_prefetch 0x1
	s_branch .LBB0_4
	.p2align	6
.LBB0_3:                                ;   in Loop: Header=BB0_4 Depth=1
	s_or_b32 exec_lo, exec_lo, s16
	s_add_u32 s16, s14, 1
	v_lshrrev_b64 v[9:10], 1, v[5:6]
	s_addc_u32 s17, s15, 0
	s_mul_i32 s11, s16, s11
	s_mul_hi_u32 s18, s16, s10
	s_mul_i32 s17, s17, s10
	s_add_i32 s11, s18, s11
	v_cmp_gt_u64_e32 vcc_lo, 2, v[5:6]
	s_add_i32 s11, s11, s17
	s_mul_i32 s15, s14, s15
	s_mul_hi_u32 s17, s14, s14
	v_mov_b32_e32 v5, v9
	s_mul_i32 s10, s16, s10
	s_add_i32 s16, s17, s15
	v_mov_b32_e32 v6, v10
	s_add_i32 s15, s16, s15
	s_or_b32 s13, vcc_lo, s13
	s_mul_i32 s14, s14, s14
	s_andn2_b32 exec_lo, exec_lo, s13
	s_cbranch_execz .LBB0_6
.LBB0_4:                                ; =>This Inner Loop Header: Depth=1
	v_and_b32_e32 v9, 1, v5
	s_mov_b32 s16, exec_lo
	v_cmpx_eq_u32_e32 1, v9
	s_cbranch_execz .LBB0_3
; %bb.5:                                ;   in Loop: Header=BB0_4 Depth=1
	v_mad_u64_u32 v[9:10], null, s14, v7, s[10:11]
	v_mul_lo_u32 v8, s14, v8
	v_mul_lo_u32 v7, s15, v7
	;; [unrolled: 1-line block ×4, first 2 shown]
	v_mad_u64_u32 v[3:4], null, s14, v3, 0
	v_add3_u32 v10, v7, v10, v8
	v_mov_b32_e32 v7, v9
	v_add3_u32 v4, v4, v12, v11
	v_mov_b32_e32 v8, v10
	s_branch .LBB0_3
.LBB0_6:
	s_inst_prefetch 0x2
	s_or_b32 exec_lo, exec_lo, s13
	v_mad_u64_u32 v[5:6], null, 0x42e, v3, v[7:8]
	v_mov_b32_e32 v3, v6
	v_mul_lo_u32 v6, 0x26f19d38, v5
	v_mad_u64_u32 v[3:4], null, 0x42e, v4, v[3:4]
	v_mul_lo_u32 v7, 0xe48e2825, v3
	v_mad_u64_u32 v[3:4], null, 0xe48e2825, v5, 1
	v_add3_u32 v4, v7, v4, v6
	v_and_b32_e32 v7, 0x7fffffff, v4
.LBB0_7:
	s_or_b32 exec_lo, exec_lo, s12
	v_mad_u64_u32 v[4:5], null, 0xe48e2825, v3, 1
	v_mul_lo_u32 v6, 0x26f19d38, v3
	v_mul_lo_u32 v8, 0xe48e2825, v7
	s_mov_b32 s10, 0x76c8b439
	s_mov_b32 s11, 0x3faa9fbe
	s_load_dwordx2 s[6:7], s[6:7], 0x50
	v_add3_u32 v5, v8, v5, v6
	v_cvt_f64_u32_e32 v[8:9], v4
	v_and_b32_e32 v5, 0x7fffffff, v5
	v_cvt_f64_u32_e32 v[5:6], v5
	v_ldexp_f64 v[5:6], v[5:6], 32
	v_add_f64 v[4:5], v[5:6], v[8:9]
	v_mov_b32_e32 v6, 1
	v_ldexp_f64 v[4:5], v[4:5], 0xffffffc1
	v_cmp_ngt_f64_e32 vcc_lo, s[10:11], v[4:5]
	s_and_saveexec_b32 s10, vcc_lo
	s_cbranch_execz .LBB0_29
; %bb.8:
	v_mov_b32_e32 v6, 2
	s_mov_b32 s12, 0x6872b021
	s_mov_b32 s13, 0x3fd4ed91
	s_mov_b32 s11, exec_lo
	v_cmpx_ngt_f64_e32 s[12:13], v[4:5]
	s_cbranch_execz .LBB0_28
; %bb.9:
	s_mov_b32 s12, 0x24dd2f1b
	s_mov_b32 s13, 0x3fdd8106
	v_mov_b32_e32 v6, 3
	v_cmp_ngt_f64_e32 vcc_lo, s[12:13], v[4:5]
	s_and_saveexec_b32 s12, vcc_lo
	s_cbranch_execz .LBB0_27
; %bb.10:
	v_mov_b32_e32 v6, 4
	s_mov_b32 s14, 0x7ae147af
	s_mov_b32 s15, 0x3fe3ae14
	s_mov_b32 s13, exec_lo
	v_cmpx_ngt_f64_e32 s[14:15], v[4:5]
	s_cbranch_execz .LBB0_26
; %bb.11:
	s_mov_b32 s14, 0x353f7cee
	s_mov_b32 s15, 0x3fe5ba5e
	v_mov_b32_e32 v6, 5
	;; [unrolled: 14-line block ×5, first 2 shown]
	v_cmp_ngt_f64_e32 vcc_lo, s[20:21], v[4:5]
	s_and_saveexec_b32 s20, vcc_lo
; %bb.18:
	v_mov_b32_e32 v6, 0
; %bb.19:
	s_or_b32 exec_lo, exec_lo, s20
.LBB0_20:
	s_or_b32 exec_lo, exec_lo, s19
.LBB0_21:
	s_or_b32 exec_lo, exec_lo, s18
.LBB0_22:
	s_or_b32 exec_lo, exec_lo, s17
.LBB0_23:
	s_or_b32 exec_lo, exec_lo, s16
.LBB0_24:
	s_or_b32 exec_lo, exec_lo, s15
.LBB0_25:
	s_or_b32 exec_lo, exec_lo, s14
.LBB0_26:
	s_or_b32 exec_lo, exec_lo, s13
.LBB0_27:
	s_or_b32 exec_lo, exec_lo, s12
.LBB0_28:
	s_or_b32 exec_lo, exec_lo, s11
.LBB0_29:
	s_or_b32 exec_lo, exec_lo, s10
	v_lshlrev_b32_e32 v4, 2, v6
	v_mov_b32_e32 v19, 0
	v_mov_b32_e32 v21, 0
	;; [unrolled: 1-line block ×4, first 2 shown]
	global_load_dword v81, v4, s[8:9]
	v_mov_b32_e32 v20, 0
	v_mov_b32_e32 v22, 0
	v_mov_b32_e32 v24, 0
	v_mov_b32_e32 v30, 0
	s_mov_b32 s104, 0
	s_mov_b32 s9, exec_lo
	s_waitcnt vmcnt(0)
	v_cmpx_lt_i32_e32 0, v81
	s_cbranch_execz .LBB0_103
; %bb.30:
	v_cvt_f64_u32_e32 v[4:5], v7
	v_cvt_f64_u32_e32 v[7:8], v3
	v_writelane_b32 v104, s9, 16
	s_load_dwordx2 s[4:5], s[4:5], 0x4
	v_mov_b32_e32 v19, 0
	v_mov_b32_e32 v21, 0
	;; [unrolled: 1-line block ×3, first 2 shown]
	v_writelane_b32 v104, s22, 17
	v_mov_b32_e32 v29, 0
	v_mov_b32_e32 v20, 0
	;; [unrolled: 1-line block ×4, first 2 shown]
	v_writelane_b32 v104, s23, 18
	v_mov_b32_e32 v30, 0
	v_mov_b32_e32 v31, 0
	s_mov_b32 s26, 0xbd3237f4
	s_mov_b32 s28, 0xb5e68a13
	v_readlane_b32 s8, v104, 12
	v_readlane_b32 s9, v104, 13
	;; [unrolled: 1-line block ×4, first 2 shown]
	s_mov_b32 s30, 0x69efb384
	v_ldexp_f64 v[3:4], v[4:5], 32
	v_mul_lo_u32 v82, v6, s8
	s_waitcnt lgkmcnt(0)
	s_lshr_b32 s4, s4, 16
	s_mov_b32 s34, 0xaf56de9b
	s_mul_i32 s4, s4, s5
	s_mov_b32 s36, 0xa595c56f
	v_mul_lo_u32 v0, s4, v0
	s_mov_b32 s38, 0xa57d9582
	s_mov_b32 s40, 0x5f08b19f
	;; [unrolled: 1-line block ×7, first 2 shown]
	v_mad_u32_u24 v0, v1, s5, v0
	v_readlane_b32 s4, v104, 0
	v_readlane_b32 s5, v104, 1
	s_mov_b32 s52, 0x8427b883
	s_mov_b32 s54, 0x8b207f05
	v_add_lshl_u32 v83, v0, v2, 6
	s_mov_b32 s56, 0x57b87036
	s_cmp_lg_u32 s5, 1
	v_add_f64 v[3:4], v[3:4], v[7:8]
	s_mov_b32 s58, 0x19378e4f
	s_mov_b32 s60, 0x17e1913c
	;; [unrolled: 1-line block ×21, first 2 shown]
	v_ldexp_f64 v[17:18], v[3:4], 0xffffffc1
	s_mov_b32 s100, 0x19e83e5c
	s_mov_b32 s102, 0x11110bb3
	;; [unrolled: 1-line block ×21, first 2 shown]
	v_cmp_gt_f64_e32 vcc_lo, 0x10000000, v[17:18]
	v_mul_f64 v[27:28], v[17:18], v[17:18]
	s_mov_b32 s61, 0x3fbc71c7
	s_mov_b32 s63, 0xbfc24924
	;; [unrolled: 1-line block ×20, first 2 shown]
	v_cndmask_b32_e64 v3, 0, 0x100, vcc_lo
	v_cndmask_b32_e64 v5, 0, 0xffffff80, vcc_lo
	s_mov_b32 s101, 0xbf2a01a0
	s_mov_b32 s103, 0x3f811111
	;; [unrolled: 1-line block ×3, first 2 shown]
	v_ldexp_f64 v[3:4], v[17:18], v3
	s_mov_b32 s11, 0x3faa80fd
	s_mov_b32 s17, 0x40544f92
	s_mov_b32 vcc_hi, 0
	s_mov_b32 s5, 0xbff921fb
	s_cselect_b32 s4, -1, 0
	s_mov_b32 s93, 0xbfc55555
	v_writelane_b32 v104, s4, 19
	v_rsq_f64_e32 v[7:8], v[3:4]
	v_cmp_class_f64_e64 vcc_lo, v[3:4], 0x260
	v_mul_f64 v[9:10], v[3:4], v[7:8]
	v_mul_f64 v[7:8], v[7:8], 0.5
	v_fma_f64 v[11:12], -v[7:8], v[9:10], 0.5
	v_fma_f64 v[9:10], v[9:10], v[11:12], v[9:10]
	v_fma_f64 v[7:8], v[7:8], v[11:12], v[7:8]
	v_fma_f64 v[11:12], -v[9:10], v[9:10], v[3:4]
	v_fma_f64 v[9:10], v[11:12], v[7:8], v[9:10]
	v_fma_f64 v[11:12], -v[9:10], v[9:10], v[3:4]
	v_fma_f64 v[7:8], v[11:12], v[7:8], v[9:10]
	v_ldexp_f64 v[5:6], v[7:8], v5
	v_cndmask_b32_e32 v26, v6, v4, vcc_lo
	v_cndmask_b32_e32 v25, v5, v3, vcc_lo
	s_branch .LBB0_34
.LBB0_31:                               ;   in Loop: Header=BB0_34 Depth=1
	s_or_b32 exec_lo, exec_lo, s22
.LBB0_32:                               ;   in Loop: Header=BB0_34 Depth=1
	s_or_b32 exec_lo, exec_lo, s33
	v_add_f64 v[2:3], v[35:36], -v[37:38]
.LBB0_33:                               ;   in Loop: Header=BB0_34 Depth=1
	v_lshlrev_b64 v[4:5], 3, v[33:34]
	v_readlane_b32 s12, v104, 10
	v_readlane_b32 s13, v104, 11
	s_add_i32 vcc_hi, vcc_hi, 1
	v_add_co_u32 v4, vcc_lo, s12, v4
	v_add_co_ci_u32_e64 v5, null, s13, v5, vcc_lo
	v_cmp_eq_u32_e32 vcc_lo, vcc_hi, v81
	global_load_dwordx2 v[4:5], v[4:5], off
	s_or_b32 s104, vcc_lo, s104
	s_waitcnt vmcnt(0)
	v_fma_f64 v[29:30], v[35:36], v[4:5], v[29:30]
	v_fma_f64 v[23:24], v[37:38], v[4:5], v[23:24]
	;; [unrolled: 1-line block ×4, first 2 shown]
	s_andn2_b32 exec_lo, exec_lo, s104
	s_cbranch_execz .LBB0_102
.LBB0_34:                               ; =>This Loop Header: Depth=1
                                        ;     Child Loop BB0_37 Depth 2
                                        ;     Child Loop BB0_59 Depth 2
	;; [unrolled: 1-line block ×4, first 2 shown]
                                        ;       Child Loop BB0_100 Depth 3
	v_add_nc_u32_e32 v33, vcc_hi, v82
	v_readlane_b32 s12, v104, 8
	v_readlane_b32 s13, v104, 9
	;; [unrolled: 1-line block ×3, first 2 shown]
                                        ; implicit-def: $vgpr37_vgpr38
                                        ; implicit-def: $vgpr35_vgpr36
	v_ashrrev_i32_e32 v34, 31, v33
	v_lshlrev_b64 v[0:1], 2, v[33:34]
	v_add_co_u32 v0, vcc_lo, s12, v0
	v_add_co_ci_u32_e64 v1, null, s13, v1, vcc_lo
	v_readlane_b32 s12, v104, 2
	v_readlane_b32 s13, v104, 3
	global_load_dword v4, v[0:1], off
	s_waitcnt vmcnt(0)
	v_ashrrev_i32_e32 v5, 31, v4
	v_lshlrev_b64 v[0:1], 2, v[4:5]
	v_add_co_u32 v0, vcc_lo, s12, v0
	v_add_co_ci_u32_e64 v1, null, s13, v1, vcc_lo
	v_readlane_b32 s12, v104, 0
	v_readlane_b32 s13, v104, 1
	global_load_dword v39, v[0:1], off
	s_waitcnt vmcnt(0)
	v_cvt_f64_i32_e32 v[0:1], v39
	v_div_scale_f64 v[2:3], null, v[0:1], v[0:1], 1.0
	v_rcp_f64_e32 v[5:6], v[2:3]
	v_fma_f64 v[7:8], -v[2:3], v[5:6], 1.0
	v_fma_f64 v[5:6], v[5:6], v[7:8], v[5:6]
	v_fma_f64 v[7:8], -v[2:3], v[5:6], 1.0
	v_fma_f64 v[5:6], v[5:6], v[7:8], v[5:6]
	v_div_scale_f64 v[7:8], vcc_lo, 1.0, v[0:1], 1.0
	v_mul_f64 v[9:10], v[7:8], v[5:6]
	v_fma_f64 v[2:3], -v[2:3], v[9:10], v[7:8]
	v_div_fmas_f64 v[2:3], v[2:3], v[5:6], v[9:10]
	v_div_fixup_f64 v[0:1], v[2:3], v[0:1], 1.0
	v_div_scale_f64 v[2:3], null, v[0:1], v[0:1], v[17:18]
	v_rcp_f64_e32 v[5:6], v[2:3]
	v_fma_f64 v[7:8], -v[2:3], v[5:6], 1.0
	v_fma_f64 v[5:6], v[5:6], v[7:8], v[5:6]
	v_fma_f64 v[7:8], -v[2:3], v[5:6], 1.0
	v_fma_f64 v[5:6], v[5:6], v[7:8], v[5:6]
	v_div_scale_f64 v[7:8], vcc_lo, v[17:18], v[0:1], v[17:18]
	v_mul_f64 v[9:10], v[7:8], v[5:6]
	v_fma_f64 v[2:3], -v[2:3], v[9:10], v[7:8]
	v_div_fmas_f64 v[2:3], v[2:3], v[5:6], v[9:10]
	v_mul_lo_u32 v6, v4, s12
	s_and_b32 vcc_lo, exec_lo, s4
	s_mov_b32 s4, -1
	v_ashrrev_i32_e32 v7, 31, v6
	v_div_fixup_f64 v[0:1], v[2:3], v[0:1], v[17:18]
                                        ; implicit-def: $vgpr2_vgpr3
	v_cvt_i32_f64_e32 v5, v[0:1]
                                        ; implicit-def: $vgpr0_vgpr1
	s_cbranch_vccz .LBB0_62
; %bb.35:                               ;   in Loop: Header=BB0_34 Depth=1
	v_lshlrev_b64 v[0:1], 3, v[6:7]
	v_readlane_b32 s12, v104, 6
	v_readlane_b32 s13, v104, 7
	v_mov_b32_e32 v40, v83
	s_mov_b32 s20, 0
	v_add_co_u32 v0, vcc_lo, s12, v0
	v_add_co_ci_u32_e64 v1, null, s13, v1, vcc_lo
	s_branch .LBB0_37
.LBB0_36:                               ;   in Loop: Header=BB0_37 Depth=2
	s_or_b32 exec_lo, exec_lo, s21
	v_mul_f64 v[8:9], v[35:36], v[35:36]
	v_mul_f64 v[41:42], v[37:38], 0.5
	s_mov_b32 s92, s18
	v_lshlrev_b32_e32 v2, 30, v32
	s_add_i32 s20, s20, 1
	s_cmp_lg_u32 s20, 4
	v_xor_b32_e32 v2, v2, v3
	v_and_b32_e32 v2, 0x80000000, v2
	v_mul_f64 v[10:11], v[8:9], 0.5
	v_mul_f64 v[43:44], v[35:36], -v[8:9]
	v_add_f64 v[12:13], -v[10:11], 1.0
	v_add_f64 v[14:15], -v[12:13], 1.0
	v_add_f64 v[10:11], v[14:15], -v[10:11]
	v_fma_f64 v[14:15], v[8:9], s[96:97], s[94:95]
	v_fma_f64 v[10:11], v[35:36], -v[37:38], v[10:11]
	v_fma_f64 v[14:15], v[8:9], v[14:15], s[98:99]
	v_fma_f64 v[14:15], v[8:9], v[14:15], s[100:101]
	;; [unrolled: 1-line block ×4, first 2 shown]
	v_fma_f64 v[14:15], v[8:9], v[14:15], -v[37:38]
	v_fma_f64 v[37:38], v[8:9], s[84:85], s[82:83]
	v_fma_f64 v[37:38], v[8:9], v[37:38], s[86:87]
	;; [unrolled: 1-line block ×5, first 2 shown]
	v_mul_f64 v[8:9], v[8:9], v[8:9]
	v_fma_f64 v[8:9], v[8:9], v[37:38], v[10:11]
	v_fma_f64 v[10:11], v[43:44], s[92:93], v[14:15]
	v_add_f64 v[8:9], v[12:13], v[8:9]
	v_add_f64 v[10:11], v[35:36], -v[10:11]
	v_and_b32_e32 v12, 1, v32
	v_cmp_eq_u32_e64 s4, 0, v12
	v_cndmask_b32_e64 v3, v8, v10, s4
	v_cndmask_b32_e64 v8, v9, v11, s4
	v_xor_b32_e32 v8, v8, v2
	v_cndmask_b32_e32 v2, 0, v3, vcc_lo
	v_cndmask_b32_e64 v3, 0xfff80000, -v8, vcc_lo
	v_add_co_u32 v0, vcc_lo, v0, 8
	v_add_co_ci_u32_e64 v1, null, 0, v1, vcc_lo
	ds_write_b64 v40, v[2:3] offset:8
	v_add_nc_u32_e32 v40, 16, v40
	s_cbranch_scc0 .LBB0_57
.LBB0_37:                               ;   Parent Loop BB0_34 Depth=1
                                        ; =>  This Inner Loop Header: Depth=2
	global_load_dwordx2 v[2:3], v[0:1], off
	s_cmp_lt_i32 s20, 2
	s_mov_b32 s4, -1
                                        ; implicit-def: $vgpr8_vgpr9
	s_waitcnt vmcnt(0)
	v_mul_f64 v[2:3], v[25:26], v[2:3]
	s_cbranch_scc1 .LBB0_45
; %bb.38:                               ;   in Loop: Header=BB0_37 Depth=2
	s_cmp_lt_i32 s20, 3
                                        ; implicit-def: $vgpr8_vgpr9
	s_cbranch_scc1 .LBB0_42
; %bb.39:                               ;   in Loop: Header=BB0_37 Depth=2
	v_mov_b32_e32 v9, v3
	v_mov_b32_e32 v8, v2
	s_cmp_eq_u32 s20, 3
	s_cbranch_scc0 .LBB0_41
; %bb.40:                               ;   in Loop: Header=BB0_37 Depth=2
	v_fma_f64 v[8:9], -v[2:3], v[2:3], 0x402e0000
	v_mul_f64 v[10:11], 0xc0180000, v[2:3]
	v_mul_f64 v[8:9], v[2:3], v[8:9]
	v_fma_f64 v[10:11], v[2:3], v[10:11], 0x402e0000
	v_div_scale_f64 v[12:13], null, v[10:11], v[10:11], v[8:9]
	v_rcp_f64_e32 v[14:15], v[12:13]
	v_fma_f64 v[35:36], -v[12:13], v[14:15], 1.0
	v_fma_f64 v[14:15], v[14:15], v[35:36], v[14:15]
	v_fma_f64 v[35:36], -v[12:13], v[14:15], 1.0
	v_fma_f64 v[14:15], v[14:15], v[35:36], v[14:15]
	v_div_scale_f64 v[35:36], vcc_lo, v[8:9], v[10:11], v[8:9]
	v_mul_f64 v[37:38], v[35:36], v[14:15]
	v_fma_f64 v[12:13], -v[12:13], v[37:38], v[35:36]
	v_div_fmas_f64 v[12:13], v[12:13], v[14:15], v[37:38]
	v_div_fixup_f64 v[8:9], v[12:13], v[10:11], v[8:9]
	v_and_b32_e32 v11, 0x7fffffff, v9
	v_mov_b32_e32 v10, v8
	v_div_scale_f64 v[12:13], null, v[10:11], v[10:11], 1.0
	v_rcp_f64_e32 v[14:15], v[12:13]
	v_fma_f64 v[35:36], -v[12:13], v[14:15], 1.0
	v_fma_f64 v[14:15], v[14:15], v[35:36], v[14:15]
	v_fma_f64 v[35:36], -v[12:13], v[14:15], 1.0
	v_fma_f64 v[14:15], v[14:15], v[35:36], v[14:15]
	v_div_scale_f64 v[35:36], vcc_lo, 1.0, v[10:11], 1.0
	v_mul_f64 v[37:38], v[35:36], v[14:15]
	v_fma_f64 v[12:13], -v[12:13], v[37:38], v[35:36]
	v_div_fmas_f64 v[12:13], v[12:13], v[14:15], v[37:38]
	v_cmp_gt_f64_e64 vcc_lo, |v[8:9]|, 1.0
	v_div_fixup_f64 v[12:13], v[12:13], |v[8:9]|, 1.0
	v_cndmask_b32_e32 v11, v11, v13, vcc_lo
	v_cndmask_b32_e32 v10, v8, v12, vcc_lo
	v_mul_f64 v[12:13], v[10:11], v[10:11]
	v_fma_f64 v[14:15], v[12:13], s[28:29], s[26:27]
	v_fma_f64 v[14:15], v[12:13], v[14:15], s[30:31]
	;; [unrolled: 1-line block ×19, first 2 shown]
	v_mul_f64 v[12:13], v[12:13], v[14:15]
	v_fma_f64 v[10:11], v[10:11], v[12:13], v[10:11]
	v_fma_f64 v[12:13], s[70:71], s[68:69], -v[10:11]
	v_cndmask_b32_e32 v11, v11, v13, vcc_lo
	v_cndmask_b32_e32 v8, v10, v12, vcc_lo
	v_bfi_b32 v9, 0x7fffffff, v11, v9
	v_add_f64 v[8:9], v[2:3], -v[8:9]
.LBB0_41:                               ;   in Loop: Header=BB0_37 Depth=2
	s_mov_b32 s4, 0
.LBB0_42:                               ;   in Loop: Header=BB0_37 Depth=2
	s_andn2_b32 vcc_lo, exec_lo, s4
	s_cbranch_vccnz .LBB0_44
; %bb.43:                               ;   in Loop: Header=BB0_37 Depth=2
	v_mul_f64 v[8:9], 0x40080000, v[2:3]
	v_fma_f64 v[10:11], -v[2:3], v[2:3], 0x40080000
	v_div_scale_f64 v[12:13], null, v[10:11], v[10:11], v[8:9]
	v_rcp_f64_e32 v[14:15], v[12:13]
	v_fma_f64 v[35:36], -v[12:13], v[14:15], 1.0
	v_fma_f64 v[14:15], v[14:15], v[35:36], v[14:15]
	v_fma_f64 v[35:36], -v[12:13], v[14:15], 1.0
	v_fma_f64 v[14:15], v[14:15], v[35:36], v[14:15]
	v_div_scale_f64 v[35:36], vcc_lo, v[8:9], v[10:11], v[8:9]
	v_mul_f64 v[37:38], v[35:36], v[14:15]
	v_fma_f64 v[12:13], -v[12:13], v[37:38], v[35:36]
	v_div_fmas_f64 v[12:13], v[12:13], v[14:15], v[37:38]
	v_div_fixup_f64 v[8:9], v[12:13], v[10:11], v[8:9]
	v_and_b32_e32 v11, 0x7fffffff, v9
	v_mov_b32_e32 v10, v8
	v_div_scale_f64 v[12:13], null, v[10:11], v[10:11], 1.0
	v_rcp_f64_e32 v[14:15], v[12:13]
	v_fma_f64 v[35:36], -v[12:13], v[14:15], 1.0
	v_fma_f64 v[14:15], v[14:15], v[35:36], v[14:15]
	v_fma_f64 v[35:36], -v[12:13], v[14:15], 1.0
	v_fma_f64 v[14:15], v[14:15], v[35:36], v[14:15]
	v_div_scale_f64 v[35:36], vcc_lo, 1.0, v[10:11], 1.0
	v_mul_f64 v[37:38], v[35:36], v[14:15]
	v_fma_f64 v[12:13], -v[12:13], v[37:38], v[35:36]
	v_div_fmas_f64 v[12:13], v[12:13], v[14:15], v[37:38]
	v_cmp_gt_f64_e64 vcc_lo, |v[8:9]|, 1.0
	v_div_fixup_f64 v[12:13], v[12:13], |v[8:9]|, 1.0
	v_cndmask_b32_e32 v11, v11, v13, vcc_lo
	v_cndmask_b32_e32 v10, v8, v12, vcc_lo
	v_mul_f64 v[12:13], v[10:11], v[10:11]
	v_fma_f64 v[14:15], v[12:13], s[28:29], s[26:27]
	v_fma_f64 v[14:15], v[12:13], v[14:15], s[30:31]
	;; [unrolled: 1-line block ×19, first 2 shown]
	v_mul_f64 v[12:13], v[12:13], v[14:15]
	v_fma_f64 v[10:11], v[10:11], v[12:13], v[10:11]
	v_fma_f64 v[12:13], s[70:71], s[68:69], -v[10:11]
	v_cndmask_b32_e32 v11, v11, v13, vcc_lo
	v_cndmask_b32_e32 v8, v10, v12, vcc_lo
	v_bfi_b32 v9, 0x7fffffff, v11, v9
	v_add_f64 v[8:9], v[2:3], -v[8:9]
.LBB0_44:                               ;   in Loop: Header=BB0_37 Depth=2
	s_mov_b32 s4, 0
.LBB0_45:                               ;   in Loop: Header=BB0_37 Depth=2
	s_andn2_b32 vcc_lo, exec_lo, s4
	s_cbranch_vccnz .LBB0_49
; %bb.46:                               ;   in Loop: Header=BB0_37 Depth=2
	s_cmp_lg_u32 s20, 1
	s_cbranch_scc1 .LBB0_48
; %bb.47:                               ;   in Loop: Header=BB0_37 Depth=2
	v_and_b32_e32 v9, 0x7fffffff, v3
	v_mov_b32_e32 v8, v2
	v_div_scale_f64 v[10:11], null, v[8:9], v[8:9], 1.0
	v_div_scale_f64 v[35:36], vcc_lo, 1.0, v[8:9], 1.0
	v_rcp_f64_e32 v[12:13], v[10:11]
	v_fma_f64 v[14:15], -v[10:11], v[12:13], 1.0
	v_fma_f64 v[12:13], v[12:13], v[14:15], v[12:13]
	v_fma_f64 v[14:15], -v[10:11], v[12:13], 1.0
	v_fma_f64 v[12:13], v[12:13], v[14:15], v[12:13]
	v_mul_f64 v[14:15], v[35:36], v[12:13]
	v_fma_f64 v[10:11], -v[10:11], v[14:15], v[35:36]
	v_div_fmas_f64 v[10:11], v[10:11], v[12:13], v[14:15]
	v_cmp_gt_f64_e64 vcc_lo, |v[2:3]|, 1.0
	v_div_fixup_f64 v[10:11], v[10:11], |v[2:3]|, 1.0
	v_cndmask_b32_e32 v9, v9, v11, vcc_lo
	v_cndmask_b32_e32 v8, v2, v10, vcc_lo
	v_mul_f64 v[10:11], v[8:9], v[8:9]
	v_fma_f64 v[12:13], v[10:11], s[28:29], s[26:27]
	v_fma_f64 v[12:13], v[10:11], v[12:13], s[30:31]
	;; [unrolled: 1-line block ×19, first 2 shown]
	v_mul_f64 v[10:11], v[10:11], v[12:13]
	v_fma_f64 v[8:9], v[8:9], v[10:11], v[8:9]
	v_fma_f64 v[10:11], s[70:71], s[68:69], -v[8:9]
	v_cndmask_b32_e32 v9, v9, v11, vcc_lo
	v_cndmask_b32_e32 v8, v8, v10, vcc_lo
	v_bfi_b32 v9, 0x7fffffff, v9, v3
	v_add_f64 v[2:3], v[2:3], v[8:9]
.LBB0_48:                               ;   in Loop: Header=BB0_37 Depth=2
	v_mov_b32_e32 v9, v3
	v_mov_b32_e32 v8, v2
.LBB0_49:                               ;   in Loop: Header=BB0_37 Depth=2
	v_add_f64 v[2:3], v[8:9], v[8:9]
                                        ; implicit-def: $vgpr32
                                        ; implicit-def: $vgpr35_vgpr36
                                        ; implicit-def: $vgpr37_vgpr38
	v_cmp_ngt_f64_e64 s21, 0x41d00000, |v[2:3]|
	v_trig_preop_f64 v[12:13], |v[2:3]|, 0
	v_trig_preop_f64 v[10:11], |v[2:3]|, 1
	v_ldexp_f64 v[14:15], |v[2:3]|, 0xffffff80
	v_trig_preop_f64 v[8:9], |v[2:3]|, 2
	v_and_b32_e32 v41, 0x7fffffff, v3
	s_and_saveexec_b32 s4, s21
	s_xor_b32 s4, exec_lo, s4
	s_cbranch_execz .LBB0_51
; %bb.50:                               ;   in Loop: Header=BB0_37 Depth=2
	v_cmp_le_f64_e64 vcc_lo, 0x7b000000, |v[2:3]|
	v_cndmask_b32_e32 v36, v41, v15, vcc_lo
	v_cndmask_b32_e32 v35, v2, v14, vcc_lo
	v_mul_f64 v[37:38], v[12:13], v[35:36]
	v_mul_f64 v[42:43], v[10:11], v[35:36]
	v_fma_f64 v[44:45], v[12:13], v[35:36], -v[37:38]
	v_add_f64 v[46:47], v[42:43], v[44:45]
	v_add_f64 v[48:49], v[46:47], -v[42:43]
	v_add_f64 v[44:45], v[44:45], -v[48:49]
	;; [unrolled: 1-line block ×4, first 2 shown]
	v_fma_f64 v[42:43], v[10:11], v[35:36], -v[42:43]
	v_add_f64 v[44:45], v[44:45], v[48:49]
	v_mul_f64 v[48:49], v[8:9], v[35:36]
	v_add_f64 v[50:51], v[48:49], v[42:43]
	v_fma_f64 v[35:36], v[8:9], v[35:36], -v[48:49]
	v_add_f64 v[52:53], v[50:51], -v[48:49]
	v_add_f64 v[42:43], v[42:43], -v[52:53]
	;; [unrolled: 1-line block ×4, first 2 shown]
	v_add_f64 v[42:43], v[42:43], v[52:53]
	v_add_f64 v[52:53], v[50:51], v[44:45]
	v_add_f64 v[54:55], v[52:53], -v[50:51]
	v_add_f64 v[44:45], v[44:45], -v[54:55]
	;; [unrolled: 1-line block ×4, first 2 shown]
	v_add_f64 v[54:55], v[37:38], v[46:47]
	v_add_f64 v[44:45], v[44:45], v[50:51]
	v_add_f64 v[37:38], v[54:55], -v[37:38]
	v_ldexp_f64 v[54:55], v[54:55], -2
	v_add_f64 v[42:43], v[42:43], v[44:45]
	v_add_f64 v[37:38], v[46:47], -v[37:38]
	v_fract_f64_e32 v[56:57], v[54:55]
	v_cmp_neq_f64_e64 vcc_lo, 0x7ff00000, |v[54:55]|
	v_add_f64 v[35:36], v[35:36], v[42:43]
	v_add_f64 v[44:45], v[37:38], v[52:53]
	v_ldexp_f64 v[56:57], v[56:57], 2
	v_add_f64 v[37:38], v[44:45], -v[37:38]
	v_cndmask_b32_e32 v47, 0, v57, vcc_lo
	v_cndmask_b32_e32 v46, 0, v56, vcc_lo
	v_add_f64 v[42:43], v[44:45], v[46:47]
	v_add_f64 v[37:38], v[52:53], -v[37:38]
	v_cmp_gt_f64_e32 vcc_lo, 0, v[42:43]
	v_add_f64 v[35:36], v[37:38], v[35:36]
	v_cndmask_b32_e64 v32, 0, 0x40100000, vcc_lo
	v_add_f64 v[42:43], v[46:47], v[31:32]
	v_add_f64 v[46:47], v[44:45], v[42:43]
	v_cvt_i32_f64_e32 v48, v[46:47]
	v_cvt_f64_i32_e32 v[46:47], v48
	v_add_f64 v[42:43], v[42:43], -v[46:47]
	v_add_f64 v[37:38], v[44:45], v[42:43]
	v_add_f64 v[42:43], v[37:38], -v[42:43]
	v_cmp_le_f64_e32 vcc_lo, 0.5, v[37:38]
	v_add_f64 v[42:43], v[44:45], -v[42:43]
	v_cndmask_b32_e64 v32, 0, 0x3ff00000, vcc_lo
	v_add_f64 v[37:38], v[37:38], -v[31:32]
	v_add_co_ci_u32_e64 v32, null, 0, v48, vcc_lo
	v_add_f64 v[35:36], v[35:36], v[42:43]
	v_add_f64 v[42:43], v[37:38], v[35:36]
	v_add_f64 v[37:38], v[42:43], -v[37:38]
	v_add_f64 v[35:36], v[35:36], -v[37:38]
	v_mul_f64 v[37:38], v[42:43], s[72:73]
	v_fma_f64 v[44:45], v[42:43], s[72:73], -v[37:38]
	v_fma_f64 v[42:43], v[42:43], s[24:25], v[44:45]
	v_fma_f64 v[42:43], v[35:36], s[72:73], v[42:43]
	v_add_f64 v[35:36], v[37:38], v[42:43]
	v_add_f64 v[37:38], v[35:36], -v[37:38]
	v_add_f64 v[37:38], v[42:43], -v[37:38]
.LBB0_51:                               ;   in Loop: Header=BB0_37 Depth=2
	s_andn2_saveexec_b32 s22, s4
	s_cbranch_execz .LBB0_53
; %bb.52:                               ;   in Loop: Header=BB0_37 Depth=2
	v_mul_f64 v[35:36], |v[2:3]|, s[76:77]
	s_mov_b32 s4, s72
	s_mov_b32 s12, s78
	;; [unrolled: 1-line block ×3, first 2 shown]
	v_rndne_f64_e32 v[42:43], v[35:36]
	v_fma_f64 v[35:36], v[42:43], s[4:5], |v[2:3]|
	v_mul_f64 v[37:38], v[42:43], s[78:79]
	v_cvt_i32_f64_e32 v32, v[42:43]
	v_fma_f64 v[46:47], v[42:43], s[78:79], v[35:36]
	v_add_f64 v[44:45], v[35:36], v[37:38]
	v_add_f64 v[35:36], v[35:36], -v[44:45]
	v_add_f64 v[44:45], v[44:45], -v[46:47]
	v_add_f64 v[35:36], v[35:36], v[37:38]
	v_fma_f64 v[37:38], v[42:43], s[12:13], v[37:38]
	v_add_f64 v[35:36], v[44:45], v[35:36]
	v_add_f64 v[35:36], v[35:36], -v[37:38]
	v_fma_f64 v[37:38], v[42:43], s[80:81], v[35:36]
	v_add_f64 v[35:36], v[46:47], v[37:38]
	v_add_f64 v[44:45], v[35:36], -v[46:47]
	v_add_f64 v[37:38], v[37:38], -v[44:45]
.LBB0_53:                               ;   in Loop: Header=BB0_37 Depth=2
	s_or_b32 exec_lo, exec_lo, s22
	v_mul_f64 v[42:43], v[35:36], v[35:36]
	v_mul_f64 v[50:51], v[37:38], 0.5
	s_mov_b32 s92, s18
	v_cmp_class_f64_e64 vcc_lo, v[2:3], 0x1f8
	v_mul_f64 v[44:45], v[42:43], 0.5
	v_mul_f64 v[52:53], v[35:36], -v[42:43]
	v_add_f64 v[46:47], -v[44:45], 1.0
	v_add_f64 v[48:49], -v[46:47], 1.0
	v_add_f64 v[44:45], v[48:49], -v[44:45]
	v_fma_f64 v[48:49], v[42:43], s[96:97], s[94:95]
	v_fma_f64 v[44:45], v[35:36], -v[37:38], v[44:45]
	v_fma_f64 v[48:49], v[42:43], v[48:49], s[98:99]
	v_fma_f64 v[48:49], v[42:43], v[48:49], s[100:101]
	;; [unrolled: 1-line block ×4, first 2 shown]
	v_fma_f64 v[37:38], v[42:43], v[48:49], -v[37:38]
	v_fma_f64 v[48:49], v[42:43], s[84:85], s[82:83]
	v_fma_f64 v[37:38], v[52:53], s[92:93], v[37:38]
	;; [unrolled: 1-line block ×3, first 2 shown]
	v_add_f64 v[35:36], v[35:36], -v[37:38]
	v_fma_f64 v[48:49], v[42:43], v[48:49], s[88:89]
	v_and_b32_e32 v37, 1, v32
	v_lshlrev_b32_e32 v32, 30, v32
	v_cmp_eq_u32_e64 s4, 0, v37
	v_and_b32_e32 v32, 0x80000000, v32
                                        ; implicit-def: $vgpr37_vgpr38
	v_xor_b32_e32 v36, 0x80000000, v36
	v_fma_f64 v[48:49], v[42:43], v[48:49], s[90:91]
	v_fma_f64 v[48:49], v[42:43], v[48:49], s[18:19]
	v_mul_f64 v[42:43], v[42:43], v[42:43]
	v_fma_f64 v[42:43], v[42:43], v[48:49], v[44:45]
	v_add_f64 v[42:43], v[46:47], v[42:43]
	v_cndmask_b32_e64 v36, v36, v43, s4
	v_cndmask_b32_e64 v35, v35, v42, s4
	v_xor_b32_e32 v32, v36, v32
	v_cndmask_b32_e32 v35, 0, v35, vcc_lo
	v_cndmask_b32_e32 v36, 0x7ff80000, v32, vcc_lo
                                        ; implicit-def: $vgpr32
	ds_write_b64 v40, v[35:36]
                                        ; implicit-def: $vgpr35_vgpr36
	s_and_saveexec_b32 s4, s21
	s_xor_b32 s21, exec_lo, s4
	s_cbranch_execz .LBB0_55
; %bb.54:                               ;   in Loop: Header=BB0_37 Depth=2
	v_cmp_le_f64_e64 s4, 0x7b000000, |v[2:3]|
	v_cndmask_b32_e64 v15, v41, v15, s4
	v_cndmask_b32_e64 v14, v2, v14, s4
	v_mul_f64 v[35:36], v[12:13], v[14:15]
	v_mul_f64 v[37:38], v[10:11], v[14:15]
	;; [unrolled: 1-line block ×3, first 2 shown]
	v_fma_f64 v[12:13], v[12:13], v[14:15], -v[35:36]
	v_fma_f64 v[10:11], v[10:11], v[14:15], -v[37:38]
	;; [unrolled: 1-line block ×3, first 2 shown]
	v_add_f64 v[14:15], v[37:38], v[12:13]
	v_add_f64 v[43:44], v[14:15], -v[37:38]
	v_add_f64 v[12:13], v[12:13], -v[43:44]
	;; [unrolled: 1-line block ×4, first 2 shown]
	v_add_f64 v[43:44], v[41:42], v[10:11]
	v_add_f64 v[12:13], v[12:13], v[37:38]
	v_add_f64 v[45:46], v[43:44], -v[41:42]
	v_add_f64 v[37:38], v[43:44], v[12:13]
	v_add_f64 v[10:11], v[10:11], -v[45:46]
	v_add_f64 v[45:46], v[43:44], -v[45:46]
	;; [unrolled: 1-line block ×3, first 2 shown]
	v_add_f64 v[10:11], v[10:11], v[41:42]
	v_add_f64 v[41:42], v[37:38], -v[43:44]
	v_add_f64 v[12:13], v[12:13], -v[41:42]
	;; [unrolled: 1-line block ×4, first 2 shown]
	v_add_f64 v[43:44], v[35:36], v[14:15]
	v_add_f64 v[12:13], v[12:13], v[41:42]
	v_add_f64 v[35:36], v[43:44], -v[35:36]
	v_ldexp_f64 v[43:44], v[43:44], -2
	v_add_f64 v[10:11], v[10:11], v[12:13]
	v_add_f64 v[14:15], v[14:15], -v[35:36]
	v_fract_f64_e32 v[45:46], v[43:44]
	v_cmp_neq_f64_e64 s4, 0x7ff00000, |v[43:44]|
	v_add_f64 v[8:9], v[8:9], v[10:11]
	v_add_f64 v[12:13], v[14:15], v[37:38]
	v_ldexp_f64 v[45:46], v[45:46], 2
	v_add_f64 v[14:15], v[12:13], -v[14:15]
	v_cndmask_b32_e64 v36, 0, v46, s4
	v_cndmask_b32_e64 v35, 0, v45, s4
	v_add_f64 v[10:11], v[12:13], v[35:36]
	v_add_f64 v[14:15], v[37:38], -v[14:15]
	v_cmp_gt_f64_e64 s4, 0, v[10:11]
	v_add_f64 v[8:9], v[14:15], v[8:9]
	v_cndmask_b32_e64 v32, 0, 0x40100000, s4
	v_add_f64 v[10:11], v[35:36], v[31:32]
	v_add_f64 v[35:36], v[12:13], v[10:11]
	v_cvt_i32_f64_e32 v41, v[35:36]
	v_cvt_f64_i32_e32 v[35:36], v41
	v_add_f64 v[10:11], v[10:11], -v[35:36]
	v_add_f64 v[14:15], v[12:13], v[10:11]
	v_add_f64 v[10:11], v[14:15], -v[10:11]
	v_cmp_le_f64_e64 s4, 0.5, v[14:15]
	v_add_f64 v[10:11], v[12:13], -v[10:11]
	v_cndmask_b32_e64 v32, 0, 0x3ff00000, s4
	v_add_f64 v[12:13], v[14:15], -v[31:32]
	v_add_co_ci_u32_e64 v32, null, 0, v41, s4
	v_add_f64 v[8:9], v[8:9], v[10:11]
	v_add_f64 v[10:11], v[12:13], v[8:9]
	v_add_f64 v[12:13], v[10:11], -v[12:13]
	v_add_f64 v[8:9], v[8:9], -v[12:13]
	v_mul_f64 v[12:13], v[10:11], s[72:73]
	v_fma_f64 v[14:15], v[10:11], s[72:73], -v[12:13]
	v_fma_f64 v[10:11], v[10:11], s[24:25], v[14:15]
	v_fma_f64 v[8:9], v[8:9], s[72:73], v[10:11]
	v_add_f64 v[35:36], v[12:13], v[8:9]
	v_add_f64 v[10:11], v[35:36], -v[12:13]
	v_add_f64 v[37:38], v[8:9], -v[10:11]
.LBB0_55:                               ;   in Loop: Header=BB0_37 Depth=2
	s_andn2_saveexec_b32 s21, s21
	s_cbranch_execz .LBB0_36
; %bb.56:                               ;   in Loop: Header=BB0_37 Depth=2
	v_mul_f64 v[8:9], |v[2:3]|, s[76:77]
	s_mov_b32 s4, s72
	s_mov_b32 s12, s78
	;; [unrolled: 1-line block ×3, first 2 shown]
	v_rndne_f64_e32 v[8:9], v[8:9]
	v_fma_f64 v[10:11], v[8:9], s[4:5], |v[2:3]|
	v_mul_f64 v[12:13], v[8:9], s[78:79]
	v_cvt_i32_f64_e32 v32, v[8:9]
	v_fma_f64 v[37:38], v[8:9], s[78:79], v[10:11]
	v_add_f64 v[14:15], v[10:11], v[12:13]
	v_add_f64 v[10:11], v[10:11], -v[14:15]
	v_add_f64 v[14:15], v[14:15], -v[37:38]
	v_add_f64 v[10:11], v[10:11], v[12:13]
	v_fma_f64 v[12:13], v[8:9], s[12:13], v[12:13]
	v_add_f64 v[10:11], v[14:15], v[10:11]
	v_add_f64 v[10:11], v[10:11], -v[12:13]
	v_fma_f64 v[10:11], v[8:9], s[80:81], v[10:11]
	v_add_f64 v[35:36], v[37:38], v[10:11]
	v_add_f64 v[12:13], v[35:36], -v[37:38]
	v_add_f64 v[37:38], v[10:11], -v[12:13]
	s_branch .LBB0_36
.LBB0_57:                               ;   in Loop: Header=BB0_34 Depth=1
	v_readlane_b32 s12, v104, 12
	v_readlane_b32 s14, v104, 14
	v_cmp_eq_u32_e32 vcc_lo, v39, v5
	v_readlane_b32 s13, v104, 13
	v_readlane_b32 s12, v104, 4
	;; [unrolled: 1-line block ×3, first 2 shown]
	v_mad_u64_u32 v[0:1], null, v4, s14, v[5:6]
	s_mov_b32 s20, exec_lo
	v_readlane_b32 s15, v104, 15
	v_subrev_co_ci_u32_e64 v0, null, 0, v0, vcc_lo
	v_ashrrev_i32_e32 v1, 31, v0
	v_lshlrev_b64 v[0:1], 5, v[0:1]
	v_add_co_u32 v0, vcc_lo, s12, v0
	v_add_co_ci_u32_e64 v1, null, s13, v1, vcc_lo
	s_clause 0x1
	global_load_dwordx4 v[8:11], v[0:1], off
	global_load_dwordx4 v[0:3], v[0:1], off offset:16
	s_waitcnt vmcnt(1)
	v_mul_f64 v[35:36], v[17:18], v[8:9]
	v_mul_f64 v[37:38], v[17:18], v[10:11]
	s_waitcnt vmcnt(0)
	v_mul_f64 v[0:1], v[17:18], v[0:1]
	v_cmpx_lt_i32_e64 v2, v3
	s_cbranch_execz .LBB0_61
; %bb.58:                               ;   in Loop: Header=BB0_34 Depth=1
	v_readlane_b32 s12, v104, 12
	v_readlane_b32 s13, v104, 13
	s_mov_b32 s21, 0
	v_readlane_b32 s14, v104, 14
	v_readlane_b32 s15, v104, 15
	v_mad_u64_u32 v[8:9], null, v4, s13, v[2:3]
	v_mad_i64_i32 v[8:9], null, 0x48, v8, s[6:7]
.LBB0_59:                               ;   Parent Loop BB0_34 Depth=1
                                        ; =>  This Inner Loop Header: Depth=2
	s_clause 0x1
	global_load_dwordx4 v[10:13], v[8:9], off
	global_load_dwordx4 v[40:43], v[8:9], off offset:16
	v_add_nc_u32_e32 v2, 1, v2
	s_waitcnt vmcnt(1)
	v_add_f64 v[10:11], v[10:11], -v[25:26]
	v_mul_f64 v[14:15], v[12:13], v[12:13]
	v_fma_f64 v[44:45], v[10:11], 0, v[12:13]
	v_fma_f64 v[12:13], 0x80000000, v[12:13], v[10:11]
	;; [unrolled: 1-line block ×3, first 2 shown]
	v_div_scale_f64 v[14:15], null, v[10:11], v[10:11], v[44:45]
	v_rcp_f64_e32 v[46:47], v[14:15]
	v_fma_f64 v[48:49], -v[14:15], v[46:47], 1.0
	v_fma_f64 v[46:47], v[46:47], v[48:49], v[46:47]
	v_fma_f64 v[48:49], -v[14:15], v[46:47], 1.0
	v_fma_f64 v[46:47], v[46:47], v[48:49], v[46:47]
	v_div_scale_f64 v[48:49], vcc_lo, v[44:45], v[10:11], v[44:45]
	v_mul_f64 v[50:51], v[48:49], v[46:47]
	v_fma_f64 v[14:15], -v[14:15], v[50:51], v[48:49]
	v_div_fmas_f64 v[14:15], v[14:15], v[46:47], v[50:51]
	v_div_scale_f64 v[46:47], null, v[10:11], v[10:11], v[12:13]
	v_div_fixup_f64 v[14:15], v[14:15], v[10:11], v[44:45]
	v_rcp_f64_e32 v[48:49], v[46:47]
	v_fma_f64 v[50:51], -v[46:47], v[48:49], 1.0
	v_fma_f64 v[48:49], v[48:49], v[50:51], v[48:49]
	v_fma_f64 v[50:51], -v[46:47], v[48:49], 1.0
	v_fma_f64 v[48:49], v[48:49], v[50:51], v[48:49]
	v_div_scale_f64 v[50:51], vcc_lo, v[12:13], v[10:11], v[12:13]
	v_mul_f64 v[52:53], v[50:51], v[48:49]
	v_fma_f64 v[46:47], -v[46:47], v[52:53], v[50:51]
	v_div_fmas_f64 v[46:47], v[46:47], v[48:49], v[52:53]
	v_div_fixup_f64 v[10:11], v[46:47], v[10:11], v[12:13]
	v_mul_f64 v[12:13], v[10:11], 0
	v_fma_f64 v[12:13], v[17:18], v[14:15], v[12:13]
	v_mul_f64 v[14:15], 0x80000000, v[14:15]
	v_div_scale_f64 v[44:45], null, v[27:28], v[27:28], v[12:13]
	v_fma_f64 v[10:11], v[17:18], v[10:11], v[14:15]
	v_rcp_f64_e32 v[46:47], v[44:45]
	v_div_scale_f64 v[14:15], null, v[27:28], v[27:28], v[10:11]
	v_fma_f64 v[48:49], -v[44:45], v[46:47], 1.0
	v_fma_f64 v[46:47], v[46:47], v[48:49], v[46:47]
	v_fma_f64 v[48:49], -v[44:45], v[46:47], 1.0
	v_fma_f64 v[46:47], v[46:47], v[48:49], v[46:47]
	v_div_scale_f64 v[48:49], vcc_lo, v[12:13], v[27:28], v[12:13]
	v_mul_f64 v[50:51], v[48:49], v[46:47]
	v_fma_f64 v[44:45], -v[44:45], v[50:51], v[48:49]
	v_div_fmas_f64 v[44:45], v[44:45], v[46:47], v[50:51]
	v_rcp_f64_e32 v[46:47], v[14:15]
	v_fma_f64 v[48:49], -v[14:15], v[46:47], 1.0
	v_fma_f64 v[46:47], v[46:47], v[48:49], v[46:47]
	v_fma_f64 v[48:49], -v[14:15], v[46:47], 1.0
	v_fma_f64 v[46:47], v[46:47], v[48:49], v[46:47]
	v_div_scale_f64 v[48:49], vcc_lo, v[10:11], v[27:28], v[10:11]
	v_mul_f64 v[50:51], v[48:49], v[46:47]
	v_fma_f64 v[14:15], -v[14:15], v[50:51], v[48:49]
	v_div_fixup_f64 v[48:49], v[44:45], v[27:28], v[12:13]
	v_div_fmas_f64 v[14:15], v[14:15], v[46:47], v[50:51]
	v_cmp_ge_i32_e32 vcc_lo, v2, v3
	s_or_b32 s21, vcc_lo, s21
	v_div_fixup_f64 v[14:15], v[14:15], v[27:28], v[10:11]
	global_load_sshort v10, v[8:9], off offset:64
	s_waitcnt vmcnt(0)
	v_lshl_add_u32 v10, v10, 4, v83
	ds_read_b128 v[10:13], v10
	s_waitcnt lgkmcnt(0)
	v_mul_f64 v[44:45], v[48:49], v[12:13]
	v_mul_f64 v[12:13], v[14:15], v[12:13]
	v_fma_f64 v[50:51], v[14:15], v[10:11], v[44:45]
	v_fma_f64 v[52:53], v[48:49], v[10:11], -v[12:13]
	s_clause 0x1
	global_load_dwordx4 v[10:13], v[8:9], off offset:32
	global_load_dwordx4 v[44:47], v[8:9], off offset:48
	v_add_co_u32 v8, s4, 0x48, v8
	v_add_co_ci_u32_e64 v9, null, 0, v9, s4
	s_waitcnt vmcnt(1)
	v_mul_f64 v[12:13], v[12:13], v[14:15]
	v_fma_f64 v[10:11], v[10:11], v[48:49], -v[12:13]
	s_waitcnt vmcnt(0)
	v_mul_f64 v[12:13], v[46:47], v[14:15]
	v_mul_f64 v[14:15], v[42:43], v[50:51]
	v_add_f64 v[37:38], v[37:38], v[10:11]
	v_fma_f64 v[12:13], v[44:45], v[48:49], -v[12:13]
	v_fma_f64 v[14:15], v[40:41], v[52:53], -v[14:15]
	v_add_f64 v[0:1], v[0:1], v[12:13]
	v_add_f64 v[35:36], v[35:36], v[14:15]
	s_andn2_b32 exec_lo, exec_lo, s21
	s_cbranch_execnz .LBB0_59
; %bb.60:                               ;   in Loop: Header=BB0_34 Depth=1
	s_or_b32 exec_lo, exec_lo, s21
.LBB0_61:                               ;   in Loop: Header=BB0_34 Depth=1
	s_or_b32 exec_lo, exec_lo, s20
	v_add_f64 v[2:3], v[35:36], -v[37:38]
	s_mov_b32 s4, 0
.LBB0_62:                               ;   in Loop: Header=BB0_34 Depth=1
	s_and_b32 vcc_lo, exec_lo, s4
	s_cbranch_vccz .LBB0_33
; %bb.63:                               ;   in Loop: Header=BB0_34 Depth=1
	v_lshlrev_b64 v[0:1], 3, v[6:7]
	v_readlane_b32 s12, v104, 6
	v_readlane_b32 s13, v104, 7
	s_mov_b32 s20, 0
	s_mov_b32 s21, 0
	v_add_co_u32 v0, vcc_lo, s12, v0
	v_add_co_ci_u32_e64 v1, null, s13, v1, vcc_lo
	s_branch .LBB0_65
.LBB0_64:                               ;   in Loop: Header=BB0_65 Depth=2
	s_or_b32 exec_lo, exec_lo, s22
	v_mul_f64 v[6:7], v[14:15], v[14:15]
	v_mul_f64 v[37:38], v[35:36], 0.5
	s_mov_b32 s92, s18
	v_lshlrev_b32_e32 v2, 30, v32
	s_add_i32 s21, s21, 1
	v_xor_b32_e32 v2, v2, v3
	v_and_b32_e32 v2, 0x80000000, v2
	v_mul_f64 v[8:9], v[6:7], 0.5
	v_mul_f64 v[40:41], v[14:15], -v[6:7]
	v_add_f64 v[10:11], -v[8:9], 1.0
	v_add_f64 v[12:13], -v[10:11], 1.0
	v_add_f64 v[8:9], v[12:13], -v[8:9]
	v_fma_f64 v[12:13], v[6:7], s[96:97], s[94:95]
	v_fma_f64 v[8:9], v[14:15], -v[35:36], v[8:9]
	v_fma_f64 v[12:13], v[6:7], v[12:13], s[98:99]
	v_fma_f64 v[12:13], v[6:7], v[12:13], s[100:101]
	;; [unrolled: 1-line block ×4, first 2 shown]
	v_fma_f64 v[12:13], v[6:7], v[12:13], -v[35:36]
	v_fma_f64 v[35:36], v[6:7], s[84:85], s[82:83]
	v_fma_f64 v[35:36], v[6:7], v[35:36], s[86:87]
	v_fma_f64 v[35:36], v[6:7], v[35:36], s[88:89]
	v_fma_f64 v[35:36], v[6:7], v[35:36], s[90:91]
	v_fma_f64 v[35:36], v[6:7], v[35:36], s[18:19]
	v_mul_f64 v[6:7], v[6:7], v[6:7]
	v_fma_f64 v[6:7], v[6:7], v[35:36], v[8:9]
	v_fma_f64 v[8:9], v[40:41], s[92:93], v[12:13]
	v_add_f64 v[6:7], v[10:11], v[6:7]
	v_add_f64 v[8:9], v[14:15], -v[8:9]
	v_and_b32_e32 v10, 1, v32
	v_cmp_eq_u32_e64 s4, 0, v10
	v_cndmask_b32_e64 v3, v6, v8, s4
	v_cndmask_b32_e64 v6, v7, v9, s4
	v_cndmask_b32_e32 v3, 0, v3, vcc_lo
	v_xor_b32_e32 v2, v6, v2
	v_mov_b32_e32 v6, s20
	s_add_i32 s20, s20, 16
	s_cmp_lg_u32 s21, 4
	v_cndmask_b32_e64 v2, 0xfff80000, -v2, vcc_lo
	v_add_co_u32 v0, vcc_lo, v0, 8
	v_add_co_ci_u32_e64 v1, null, 0, v1, vcc_lo
	buffer_store_dword v3, v6, s[0:3], 0 offen offset:8
	buffer_store_dword v2, v6, s[0:3], 0 offen offset:12
	s_cbranch_scc0 .LBB0_85
.LBB0_65:                               ;   Parent Loop BB0_34 Depth=1
                                        ; =>  This Inner Loop Header: Depth=2
	global_load_dwordx2 v[2:3], v[0:1], off
	s_cmp_lt_i32 s21, 2
	s_mov_b32 s4, -1
                                        ; implicit-def: $vgpr6_vgpr7
	s_waitcnt vmcnt(0)
	v_mul_f64 v[2:3], v[25:26], v[2:3]
	s_cbranch_scc1 .LBB0_73
; %bb.66:                               ;   in Loop: Header=BB0_65 Depth=2
	s_cmp_lt_i32 s21, 3
                                        ; implicit-def: $vgpr6_vgpr7
	s_cbranch_scc1 .LBB0_70
; %bb.67:                               ;   in Loop: Header=BB0_65 Depth=2
	v_mov_b32_e32 v7, v3
	v_mov_b32_e32 v6, v2
	s_cmp_eq_u32 s21, 3
	s_cbranch_scc0 .LBB0_69
; %bb.68:                               ;   in Loop: Header=BB0_65 Depth=2
	v_fma_f64 v[6:7], -v[2:3], v[2:3], 0x402e0000
	v_mul_f64 v[8:9], 0xc0180000, v[2:3]
	v_mul_f64 v[6:7], v[2:3], v[6:7]
	v_fma_f64 v[8:9], v[2:3], v[8:9], 0x402e0000
	v_div_scale_f64 v[10:11], null, v[8:9], v[8:9], v[6:7]
	v_rcp_f64_e32 v[12:13], v[10:11]
	v_fma_f64 v[14:15], -v[10:11], v[12:13], 1.0
	v_fma_f64 v[12:13], v[12:13], v[14:15], v[12:13]
	v_fma_f64 v[14:15], -v[10:11], v[12:13], 1.0
	v_fma_f64 v[12:13], v[12:13], v[14:15], v[12:13]
	v_div_scale_f64 v[14:15], vcc_lo, v[6:7], v[8:9], v[6:7]
	v_mul_f64 v[35:36], v[14:15], v[12:13]
	v_fma_f64 v[10:11], -v[10:11], v[35:36], v[14:15]
	v_div_fmas_f64 v[10:11], v[10:11], v[12:13], v[35:36]
	v_div_fixup_f64 v[6:7], v[10:11], v[8:9], v[6:7]
	v_and_b32_e32 v9, 0x7fffffff, v7
	v_mov_b32_e32 v8, v6
	v_div_scale_f64 v[10:11], null, v[8:9], v[8:9], 1.0
	v_rcp_f64_e32 v[12:13], v[10:11]
	v_fma_f64 v[14:15], -v[10:11], v[12:13], 1.0
	v_fma_f64 v[12:13], v[12:13], v[14:15], v[12:13]
	v_fma_f64 v[14:15], -v[10:11], v[12:13], 1.0
	v_fma_f64 v[12:13], v[12:13], v[14:15], v[12:13]
	v_div_scale_f64 v[14:15], vcc_lo, 1.0, v[8:9], 1.0
	v_mul_f64 v[35:36], v[14:15], v[12:13]
	v_fma_f64 v[10:11], -v[10:11], v[35:36], v[14:15]
	v_div_fmas_f64 v[10:11], v[10:11], v[12:13], v[35:36]
	v_cmp_gt_f64_e64 vcc_lo, |v[6:7]|, 1.0
	v_div_fixup_f64 v[10:11], v[10:11], |v[6:7]|, 1.0
	v_cndmask_b32_e32 v9, v9, v11, vcc_lo
	v_cndmask_b32_e32 v8, v6, v10, vcc_lo
	v_mul_f64 v[10:11], v[8:9], v[8:9]
	v_fma_f64 v[12:13], v[10:11], s[28:29], s[26:27]
	v_fma_f64 v[12:13], v[10:11], v[12:13], s[30:31]
	;; [unrolled: 1-line block ×19, first 2 shown]
	v_mul_f64 v[10:11], v[10:11], v[12:13]
	v_fma_f64 v[8:9], v[8:9], v[10:11], v[8:9]
	v_fma_f64 v[10:11], s[70:71], s[68:69], -v[8:9]
	v_cndmask_b32_e32 v9, v9, v11, vcc_lo
	v_cndmask_b32_e32 v6, v8, v10, vcc_lo
	v_bfi_b32 v7, 0x7fffffff, v9, v7
	v_add_f64 v[6:7], v[2:3], -v[6:7]
.LBB0_69:                               ;   in Loop: Header=BB0_65 Depth=2
	s_mov_b32 s4, 0
.LBB0_70:                               ;   in Loop: Header=BB0_65 Depth=2
	s_andn2_b32 vcc_lo, exec_lo, s4
	s_cbranch_vccnz .LBB0_72
; %bb.71:                               ;   in Loop: Header=BB0_65 Depth=2
	v_mul_f64 v[6:7], 0x40080000, v[2:3]
	v_fma_f64 v[8:9], -v[2:3], v[2:3], 0x40080000
	v_div_scale_f64 v[10:11], null, v[8:9], v[8:9], v[6:7]
	v_rcp_f64_e32 v[12:13], v[10:11]
	v_fma_f64 v[14:15], -v[10:11], v[12:13], 1.0
	v_fma_f64 v[12:13], v[12:13], v[14:15], v[12:13]
	v_fma_f64 v[14:15], -v[10:11], v[12:13], 1.0
	v_fma_f64 v[12:13], v[12:13], v[14:15], v[12:13]
	v_div_scale_f64 v[14:15], vcc_lo, v[6:7], v[8:9], v[6:7]
	v_mul_f64 v[35:36], v[14:15], v[12:13]
	v_fma_f64 v[10:11], -v[10:11], v[35:36], v[14:15]
	v_div_fmas_f64 v[10:11], v[10:11], v[12:13], v[35:36]
	v_div_fixup_f64 v[6:7], v[10:11], v[8:9], v[6:7]
	v_and_b32_e32 v9, 0x7fffffff, v7
	v_mov_b32_e32 v8, v6
	v_div_scale_f64 v[10:11], null, v[8:9], v[8:9], 1.0
	v_rcp_f64_e32 v[12:13], v[10:11]
	v_fma_f64 v[14:15], -v[10:11], v[12:13], 1.0
	v_fma_f64 v[12:13], v[12:13], v[14:15], v[12:13]
	v_fma_f64 v[14:15], -v[10:11], v[12:13], 1.0
	v_fma_f64 v[12:13], v[12:13], v[14:15], v[12:13]
	v_div_scale_f64 v[14:15], vcc_lo, 1.0, v[8:9], 1.0
	v_mul_f64 v[35:36], v[14:15], v[12:13]
	v_fma_f64 v[10:11], -v[10:11], v[35:36], v[14:15]
	v_div_fmas_f64 v[10:11], v[10:11], v[12:13], v[35:36]
	v_cmp_gt_f64_e64 vcc_lo, |v[6:7]|, 1.0
	v_div_fixup_f64 v[10:11], v[10:11], |v[6:7]|, 1.0
	v_cndmask_b32_e32 v9, v9, v11, vcc_lo
	v_cndmask_b32_e32 v8, v6, v10, vcc_lo
	v_mul_f64 v[10:11], v[8:9], v[8:9]
	v_fma_f64 v[12:13], v[10:11], s[28:29], s[26:27]
	v_fma_f64 v[12:13], v[10:11], v[12:13], s[30:31]
	;; [unrolled: 1-line block ×19, first 2 shown]
	v_mul_f64 v[10:11], v[10:11], v[12:13]
	v_fma_f64 v[8:9], v[8:9], v[10:11], v[8:9]
	v_fma_f64 v[10:11], s[70:71], s[68:69], -v[8:9]
	v_cndmask_b32_e32 v9, v9, v11, vcc_lo
	v_cndmask_b32_e32 v6, v8, v10, vcc_lo
	v_bfi_b32 v7, 0x7fffffff, v9, v7
	v_add_f64 v[6:7], v[2:3], -v[6:7]
.LBB0_72:                               ;   in Loop: Header=BB0_65 Depth=2
	s_mov_b32 s4, 0
.LBB0_73:                               ;   in Loop: Header=BB0_65 Depth=2
	s_andn2_b32 vcc_lo, exec_lo, s4
	s_cbranch_vccnz .LBB0_77
; %bb.74:                               ;   in Loop: Header=BB0_65 Depth=2
	s_cmp_lg_u32 s21, 1
	s_cbranch_scc1 .LBB0_76
; %bb.75:                               ;   in Loop: Header=BB0_65 Depth=2
	v_and_b32_e32 v7, 0x7fffffff, v3
	v_mov_b32_e32 v6, v2
	v_div_scale_f64 v[8:9], null, v[6:7], v[6:7], 1.0
	v_div_scale_f64 v[14:15], vcc_lo, 1.0, v[6:7], 1.0
	v_rcp_f64_e32 v[10:11], v[8:9]
	v_fma_f64 v[12:13], -v[8:9], v[10:11], 1.0
	v_fma_f64 v[10:11], v[10:11], v[12:13], v[10:11]
	v_fma_f64 v[12:13], -v[8:9], v[10:11], 1.0
	v_fma_f64 v[10:11], v[10:11], v[12:13], v[10:11]
	v_mul_f64 v[12:13], v[14:15], v[10:11]
	v_fma_f64 v[8:9], -v[8:9], v[12:13], v[14:15]
	v_div_fmas_f64 v[8:9], v[8:9], v[10:11], v[12:13]
	v_cmp_gt_f64_e64 vcc_lo, |v[2:3]|, 1.0
	v_div_fixup_f64 v[8:9], v[8:9], |v[2:3]|, 1.0
	v_cndmask_b32_e32 v7, v7, v9, vcc_lo
	v_cndmask_b32_e32 v6, v2, v8, vcc_lo
	v_mul_f64 v[8:9], v[6:7], v[6:7]
	v_fma_f64 v[10:11], v[8:9], s[28:29], s[26:27]
	v_fma_f64 v[10:11], v[8:9], v[10:11], s[30:31]
	;; [unrolled: 1-line block ×19, first 2 shown]
	v_mul_f64 v[8:9], v[8:9], v[10:11]
	v_fma_f64 v[6:7], v[6:7], v[8:9], v[6:7]
	v_fma_f64 v[8:9], s[70:71], s[68:69], -v[6:7]
	v_cndmask_b32_e32 v7, v7, v9, vcc_lo
	v_cndmask_b32_e32 v6, v6, v8, vcc_lo
	v_bfi_b32 v7, 0x7fffffff, v7, v3
	v_add_f64 v[2:3], v[2:3], v[6:7]
.LBB0_76:                               ;   in Loop: Header=BB0_65 Depth=2
	v_mov_b32_e32 v7, v3
	v_mov_b32_e32 v6, v2
.LBB0_77:                               ;   in Loop: Header=BB0_65 Depth=2
	v_add_f64 v[2:3], v[6:7], v[6:7]
                                        ; implicit-def: $vgpr32
                                        ; implicit-def: $vgpr14_vgpr15
                                        ; implicit-def: $vgpr35_vgpr36
	v_cmp_ngt_f64_e64 s22, 0x41d00000, |v[2:3]|
	v_trig_preop_f64 v[10:11], |v[2:3]|, 0
	v_trig_preop_f64 v[8:9], |v[2:3]|, 1
	v_ldexp_f64 v[12:13], |v[2:3]|, 0xffffff80
	v_trig_preop_f64 v[6:7], |v[2:3]|, 2
	v_and_b32_e32 v37, 0x7fffffff, v3
	s_and_saveexec_b32 s4, s22
	s_xor_b32 s4, exec_lo, s4
	s_cbranch_execz .LBB0_79
; %bb.78:                               ;   in Loop: Header=BB0_65 Depth=2
	v_cmp_le_f64_e64 vcc_lo, 0x7b000000, |v[2:3]|
	v_cndmask_b32_e32 v15, v37, v13, vcc_lo
	v_cndmask_b32_e32 v14, v2, v12, vcc_lo
	v_mul_f64 v[35:36], v[10:11], v[14:15]
	v_mul_f64 v[40:41], v[8:9], v[14:15]
	v_fma_f64 v[42:43], v[10:11], v[14:15], -v[35:36]
	v_add_f64 v[44:45], v[40:41], v[42:43]
	v_add_f64 v[46:47], v[44:45], -v[40:41]
	v_add_f64 v[42:43], v[42:43], -v[46:47]
	;; [unrolled: 1-line block ×4, first 2 shown]
	v_fma_f64 v[40:41], v[8:9], v[14:15], -v[40:41]
	v_add_f64 v[42:43], v[42:43], v[46:47]
	v_mul_f64 v[46:47], v[6:7], v[14:15]
	v_add_f64 v[48:49], v[46:47], v[40:41]
	v_fma_f64 v[14:15], v[6:7], v[14:15], -v[46:47]
	v_add_f64 v[50:51], v[48:49], -v[46:47]
	v_add_f64 v[40:41], v[40:41], -v[50:51]
	;; [unrolled: 1-line block ×4, first 2 shown]
	v_add_f64 v[40:41], v[40:41], v[50:51]
	v_add_f64 v[50:51], v[48:49], v[42:43]
	v_add_f64 v[52:53], v[50:51], -v[48:49]
	v_add_f64 v[42:43], v[42:43], -v[52:53]
	;; [unrolled: 1-line block ×4, first 2 shown]
	v_add_f64 v[52:53], v[35:36], v[44:45]
	v_add_f64 v[42:43], v[42:43], v[48:49]
	v_add_f64 v[35:36], v[52:53], -v[35:36]
	v_ldexp_f64 v[52:53], v[52:53], -2
	v_add_f64 v[40:41], v[40:41], v[42:43]
	v_add_f64 v[35:36], v[44:45], -v[35:36]
	v_fract_f64_e32 v[54:55], v[52:53]
	v_cmp_neq_f64_e64 vcc_lo, 0x7ff00000, |v[52:53]|
	v_add_f64 v[14:15], v[14:15], v[40:41]
	v_add_f64 v[42:43], v[35:36], v[50:51]
	v_ldexp_f64 v[54:55], v[54:55], 2
	v_add_f64 v[35:36], v[42:43], -v[35:36]
	v_cndmask_b32_e32 v45, 0, v55, vcc_lo
	v_cndmask_b32_e32 v44, 0, v54, vcc_lo
	v_add_f64 v[40:41], v[42:43], v[44:45]
	v_add_f64 v[35:36], v[50:51], -v[35:36]
	v_cmp_gt_f64_e32 vcc_lo, 0, v[40:41]
	v_add_f64 v[14:15], v[35:36], v[14:15]
	v_cndmask_b32_e64 v32, 0, 0x40100000, vcc_lo
	v_add_f64 v[40:41], v[44:45], v[31:32]
	v_add_f64 v[44:45], v[42:43], v[40:41]
	v_cvt_i32_f64_e32 v38, v[44:45]
	v_cvt_f64_i32_e32 v[44:45], v38
	v_add_f64 v[40:41], v[40:41], -v[44:45]
	v_add_f64 v[35:36], v[42:43], v[40:41]
	v_add_f64 v[40:41], v[35:36], -v[40:41]
	v_cmp_le_f64_e32 vcc_lo, 0.5, v[35:36]
	v_add_f64 v[40:41], v[42:43], -v[40:41]
	v_cndmask_b32_e64 v32, 0, 0x3ff00000, vcc_lo
	v_add_f64 v[35:36], v[35:36], -v[31:32]
	v_add_co_ci_u32_e64 v32, null, 0, v38, vcc_lo
	v_add_f64 v[14:15], v[14:15], v[40:41]
	v_add_f64 v[40:41], v[35:36], v[14:15]
	v_add_f64 v[35:36], v[40:41], -v[35:36]
	v_add_f64 v[14:15], v[14:15], -v[35:36]
	v_mul_f64 v[35:36], v[40:41], s[72:73]
	v_fma_f64 v[42:43], v[40:41], s[72:73], -v[35:36]
	v_fma_f64 v[40:41], v[40:41], s[24:25], v[42:43]
	v_fma_f64 v[40:41], v[14:15], s[72:73], v[40:41]
	v_add_f64 v[14:15], v[35:36], v[40:41]
	v_add_f64 v[35:36], v[14:15], -v[35:36]
	v_add_f64 v[35:36], v[40:41], -v[35:36]
.LBB0_79:                               ;   in Loop: Header=BB0_65 Depth=2
	s_andn2_saveexec_b32 s23, s4
	s_cbranch_execz .LBB0_81
; %bb.80:                               ;   in Loop: Header=BB0_65 Depth=2
	v_mul_f64 v[14:15], |v[2:3]|, s[76:77]
	s_mov_b32 s4, s72
	s_mov_b32 s74, s78
	s_mov_b32 s75, s25
	v_rndne_f64_e32 v[40:41], v[14:15]
	v_fma_f64 v[14:15], v[40:41], s[4:5], |v[2:3]|
	v_mul_f64 v[35:36], v[40:41], s[78:79]
	v_cvt_i32_f64_e32 v32, v[40:41]
	v_fma_f64 v[44:45], v[40:41], s[78:79], v[14:15]
	v_add_f64 v[42:43], v[14:15], v[35:36]
	v_add_f64 v[14:15], v[14:15], -v[42:43]
	v_add_f64 v[42:43], v[42:43], -v[44:45]
	v_add_f64 v[14:15], v[14:15], v[35:36]
	v_fma_f64 v[35:36], v[40:41], s[74:75], v[35:36]
	v_add_f64 v[14:15], v[42:43], v[14:15]
	v_add_f64 v[14:15], v[14:15], -v[35:36]
	v_fma_f64 v[35:36], v[40:41], s[80:81], v[14:15]
	v_add_f64 v[14:15], v[44:45], v[35:36]
	v_add_f64 v[42:43], v[14:15], -v[44:45]
	v_add_f64 v[35:36], v[35:36], -v[42:43]
.LBB0_81:                               ;   in Loop: Header=BB0_65 Depth=2
	s_or_b32 exec_lo, exec_lo, s23
	v_mul_f64 v[40:41], v[14:15], v[14:15]
	v_mul_f64 v[48:49], v[35:36], 0.5
	s_mov_b32 s92, s18
	v_cmp_class_f64_e64 vcc_lo, v[2:3], 0x1f8
	v_mul_f64 v[42:43], v[40:41], 0.5
	v_mul_f64 v[50:51], v[14:15], -v[40:41]
	v_add_f64 v[44:45], -v[42:43], 1.0
	v_add_f64 v[46:47], -v[44:45], 1.0
	v_add_f64 v[42:43], v[46:47], -v[42:43]
	v_fma_f64 v[46:47], v[40:41], s[96:97], s[94:95]
	v_fma_f64 v[42:43], v[14:15], -v[35:36], v[42:43]
	v_fma_f64 v[46:47], v[40:41], v[46:47], s[98:99]
	v_fma_f64 v[46:47], v[40:41], v[46:47], s[100:101]
	;; [unrolled: 1-line block ×4, first 2 shown]
	v_fma_f64 v[35:36], v[40:41], v[46:47], -v[35:36]
	v_fma_f64 v[46:47], v[40:41], s[84:85], s[82:83]
	v_fma_f64 v[35:36], v[50:51], s[92:93], v[35:36]
	;; [unrolled: 1-line block ×3, first 2 shown]
	v_add_f64 v[14:15], v[14:15], -v[35:36]
	v_fma_f64 v[46:47], v[40:41], v[46:47], s[88:89]
	v_and_b32_e32 v35, 1, v32
	v_lshlrev_b32_e32 v32, 30, v32
	v_cmp_eq_u32_e64 s4, 0, v35
	v_and_b32_e32 v32, 0x80000000, v32
                                        ; implicit-def: $vgpr35_vgpr36
	v_xor_b32_e32 v15, 0x80000000, v15
	v_fma_f64 v[46:47], v[40:41], v[46:47], s[90:91]
	v_fma_f64 v[46:47], v[40:41], v[46:47], s[18:19]
	v_mul_f64 v[40:41], v[40:41], v[40:41]
	v_fma_f64 v[40:41], v[40:41], v[46:47], v[42:43]
	v_add_f64 v[40:41], v[44:45], v[40:41]
	v_cndmask_b32_e64 v15, v15, v41, s4
	v_cndmask_b32_e64 v14, v14, v40, s4
	v_xor_b32_e32 v15, v15, v32
	v_mov_b32_e32 v32, s20
	v_cndmask_b32_e32 v14, 0, v14, vcc_lo
	v_cndmask_b32_e32 v15, 0x7ff80000, v15, vcc_lo
	buffer_store_dword v14, v32, s[0:3], 0 offen
	buffer_store_dword v15, v32, s[0:3], 0 offen offset:4
                                        ; implicit-def: $vgpr32
                                        ; implicit-def: $vgpr14_vgpr15
	s_and_saveexec_b32 s4, s22
	s_xor_b32 s22, exec_lo, s4
	s_cbranch_execz .LBB0_83
; %bb.82:                               ;   in Loop: Header=BB0_65 Depth=2
	v_cmp_le_f64_e64 s4, 0x7b000000, |v[2:3]|
	v_cndmask_b32_e64 v13, v37, v13, s4
	v_cndmask_b32_e64 v12, v2, v12, s4
	v_mul_f64 v[14:15], v[10:11], v[12:13]
	v_mul_f64 v[35:36], v[8:9], v[12:13]
	;; [unrolled: 1-line block ×3, first 2 shown]
	v_fma_f64 v[10:11], v[10:11], v[12:13], -v[14:15]
	v_fma_f64 v[8:9], v[8:9], v[12:13], -v[35:36]
	;; [unrolled: 1-line block ×3, first 2 shown]
	v_add_f64 v[12:13], v[35:36], v[10:11]
	v_add_f64 v[40:41], v[12:13], -v[35:36]
	v_add_f64 v[10:11], v[10:11], -v[40:41]
	;; [unrolled: 1-line block ×4, first 2 shown]
	v_add_f64 v[40:41], v[37:38], v[8:9]
	v_add_f64 v[10:11], v[10:11], v[35:36]
	v_add_f64 v[42:43], v[40:41], -v[37:38]
	v_add_f64 v[35:36], v[40:41], v[10:11]
	v_add_f64 v[8:9], v[8:9], -v[42:43]
	v_add_f64 v[42:43], v[40:41], -v[42:43]
	;; [unrolled: 1-line block ×3, first 2 shown]
	v_add_f64 v[8:9], v[8:9], v[37:38]
	v_add_f64 v[37:38], v[35:36], -v[40:41]
	v_add_f64 v[10:11], v[10:11], -v[37:38]
	;; [unrolled: 1-line block ×4, first 2 shown]
	v_add_f64 v[40:41], v[14:15], v[12:13]
	v_add_f64 v[10:11], v[10:11], v[37:38]
	v_add_f64 v[14:15], v[40:41], -v[14:15]
	v_ldexp_f64 v[40:41], v[40:41], -2
	v_add_f64 v[8:9], v[8:9], v[10:11]
	v_add_f64 v[12:13], v[12:13], -v[14:15]
	v_fract_f64_e32 v[42:43], v[40:41]
	v_cmp_neq_f64_e64 s4, 0x7ff00000, |v[40:41]|
	v_add_f64 v[6:7], v[6:7], v[8:9]
	v_add_f64 v[10:11], v[12:13], v[35:36]
	v_ldexp_f64 v[42:43], v[42:43], 2
	v_add_f64 v[12:13], v[10:11], -v[12:13]
	v_cndmask_b32_e64 v15, 0, v43, s4
	v_cndmask_b32_e64 v14, 0, v42, s4
	v_add_f64 v[8:9], v[10:11], v[14:15]
	v_add_f64 v[12:13], v[35:36], -v[12:13]
	v_cmp_gt_f64_e64 s4, 0, v[8:9]
	v_add_f64 v[6:7], v[12:13], v[6:7]
	v_cndmask_b32_e64 v32, 0, 0x40100000, s4
	v_add_f64 v[8:9], v[14:15], v[31:32]
	v_add_f64 v[14:15], v[10:11], v[8:9]
	v_cvt_i32_f64_e32 v37, v[14:15]
	v_cvt_f64_i32_e32 v[14:15], v37
	v_add_f64 v[8:9], v[8:9], -v[14:15]
	v_add_f64 v[12:13], v[10:11], v[8:9]
	v_add_f64 v[8:9], v[12:13], -v[8:9]
	v_cmp_le_f64_e64 s4, 0.5, v[12:13]
	v_add_f64 v[8:9], v[10:11], -v[8:9]
	v_cndmask_b32_e64 v32, 0, 0x3ff00000, s4
	v_add_f64 v[10:11], v[12:13], -v[31:32]
	v_add_co_ci_u32_e64 v32, null, 0, v37, s4
	v_add_f64 v[6:7], v[6:7], v[8:9]
	v_add_f64 v[8:9], v[10:11], v[6:7]
	v_add_f64 v[10:11], v[8:9], -v[10:11]
	v_add_f64 v[6:7], v[6:7], -v[10:11]
	v_mul_f64 v[10:11], v[8:9], s[72:73]
	v_fma_f64 v[12:13], v[8:9], s[72:73], -v[10:11]
	v_fma_f64 v[8:9], v[8:9], s[24:25], v[12:13]
	v_fma_f64 v[6:7], v[6:7], s[72:73], v[8:9]
	v_add_f64 v[14:15], v[10:11], v[6:7]
	v_add_f64 v[8:9], v[14:15], -v[10:11]
	v_add_f64 v[35:36], v[6:7], -v[8:9]
.LBB0_83:                               ;   in Loop: Header=BB0_65 Depth=2
	s_andn2_saveexec_b32 s22, s22
	s_cbranch_execz .LBB0_64
; %bb.84:                               ;   in Loop: Header=BB0_65 Depth=2
	v_mul_f64 v[6:7], |v[2:3]|, s[76:77]
	s_mov_b32 s4, s72
	s_mov_b32 s74, s78
	;; [unrolled: 1-line block ×3, first 2 shown]
	v_rndne_f64_e32 v[6:7], v[6:7]
	v_fma_f64 v[8:9], v[6:7], s[4:5], |v[2:3]|
	v_mul_f64 v[10:11], v[6:7], s[78:79]
	v_cvt_i32_f64_e32 v32, v[6:7]
	v_fma_f64 v[35:36], v[6:7], s[78:79], v[8:9]
	v_add_f64 v[12:13], v[8:9], v[10:11]
	v_add_f64 v[8:9], v[8:9], -v[12:13]
	v_add_f64 v[12:13], v[12:13], -v[35:36]
	v_add_f64 v[8:9], v[8:9], v[10:11]
	v_fma_f64 v[10:11], v[6:7], s[74:75], v[10:11]
	v_add_f64 v[8:9], v[12:13], v[8:9]
	v_add_f64 v[8:9], v[8:9], -v[10:11]
	v_fma_f64 v[8:9], v[6:7], s[80:81], v[8:9]
	v_add_f64 v[14:15], v[35:36], v[8:9]
	v_add_f64 v[10:11], v[14:15], -v[35:36]
	v_add_f64 v[35:36], v[8:9], -v[10:11]
	s_branch .LBB0_64
.LBB0_85:                               ;   in Loop: Header=BB0_34 Depth=1
	v_readlane_b32 s12, v104, 12
	v_readlane_b32 s14, v104, 14
	v_cmp_eq_u32_e32 vcc_lo, v39, v5
	v_readlane_b32 s13, v104, 13
	v_readlane_b32 s12, v104, 4
	;; [unrolled: 1-line block ×3, first 2 shown]
	v_mad_u64_u32 v[0:1], null, v4, s14, v[5:6]
	s_mov_b32 s33, exec_lo
	v_readlane_b32 s15, v104, 15
	v_subrev_co_ci_u32_e64 v0, null, 0, v0, vcc_lo
	v_ashrrev_i32_e32 v1, 31, v0
	v_lshlrev_b64 v[0:1], 5, v[0:1]
	v_add_co_u32 v0, vcc_lo, s12, v0
	v_add_co_ci_u32_e64 v1, null, s13, v1, vcc_lo
	s_clause 0x1
	global_load_dwordx4 v[5:8], v[0:1], off
	global_load_dwordx4 v[0:3], v[0:1], off offset:16
	s_waitcnt vmcnt(1)
	v_mul_f64 v[35:36], v[17:18], v[5:6]
	v_mul_f64 v[37:38], v[17:18], v[7:8]
	s_waitcnt vmcnt(0)
	v_mul_f64 v[0:1], v[17:18], v[0:1]
	v_cmpx_lt_i32_e64 v2, v3
	s_cbranch_execz .LBB0_32
; %bb.86:                               ;   in Loop: Header=BB0_34 Depth=1
	v_readlane_b32 s12, v104, 12
	v_readlane_b32 s13, v104, 13
	s_mov_b32 s22, 0
	v_readlane_b32 s14, v104, 14
	v_readlane_b32 s15, v104, 15
	v_mul_lo_u32 v84, v4, s13
	s_branch .LBB0_88
.LBB0_87:                               ;   in Loop: Header=BB0_88 Depth=2
	s_or_b32 exec_lo, exec_lo, s23
	s_waitcnt vmcnt(2)
	v_bfe_i32 v32, v85, 0, 16
	s_waitcnt vmcnt(1)
	v_mul_f64 v[10:11], v[10:11], v[45:46]
	v_add_nc_u32_e32 v2, 1, v2
	v_lshl_add_u32 v32, v32, 4, 0
	s_clause 0x3
	buffer_load_dword v39, v32, s[0:3], 0 offen offset:8
	buffer_load_dword v40, v32, s[0:3], 0 offen offset:12
	buffer_load_dword v41, v32, s[0:3], 0 offen
	buffer_load_dword v42, v32, s[0:3], 0 offen offset:4
	v_cmp_ge_i32_e32 vcc_lo, v2, v3
	s_or_b32 s22, vcc_lo, s22
	v_fma_f64 v[8:9], v[8:9], v[43:44], -v[10:11]
	v_add_f64 v[0:1], v[0:1], v[8:9]
	s_waitcnt vmcnt(2)
	v_mul_f64 v[47:48], v[43:44], v[39:40]
	v_mul_f64 v[39:40], v[45:46], v[39:40]
	s_waitcnt vmcnt(0)
	v_fma_f64 v[47:48], v[45:46], v[41:42], v[47:48]
	v_fma_f64 v[39:40], v[43:44], v[41:42], -v[39:40]
	v_mul_f64 v[6:7], v[6:7], v[47:48]
	v_fma_f64 v[4:5], v[4:5], v[39:40], -v[6:7]
	v_mul_f64 v[6:7], v[14:15], v[45:46]
	v_add_f64 v[35:36], v[35:36], v[4:5]
	v_fma_f64 v[6:7], v[12:13], v[43:44], -v[6:7]
	v_add_f64 v[37:38], v[37:38], v[6:7]
	s_andn2_b32 exec_lo, exec_lo, s22
	s_cbranch_execz .LBB0_31
.LBB0_88:                               ;   Parent Loop BB0_34 Depth=1
                                        ; =>  This Loop Header: Depth=2
                                        ;       Child Loop BB0_100 Depth 3
	v_add_nc_u32_e32 v4, v2, v84
	v_mad_i64_i32 v[12:13], null, 0x48, v4, s[6:7]
	s_clause 0x1
	global_load_dwordx4 v[8:11], v[12:13], off
	global_load_dwordx4 v[4:7], v[12:13], off offset:16
	s_waitcnt vmcnt(1)
	v_add_f64 v[10:11], -v[10:11], 0
	v_add_f64 v[8:9], v[17:18], -v[8:9]
	v_mul_f64 v[14:15], v[10:11], 0.5
	v_mul_f64 v[10:11], v[10:11], 0
	v_fma_f64 v[39:40], v[8:9], 0, v[14:15]
	v_fma_f64 v[41:42], v[8:9], 0.5, -v[10:11]
	v_mul_f64 v[8:9], v[39:40], v[39:40]
	v_fma_f64 v[10:11], v[41:42], v[41:42], v[8:9]
	v_cmp_gt_f64_e32 vcc_lo, 0x10000000, v[10:11]
	v_cndmask_b32_e64 v14, 0, 0x100, vcc_lo
	v_cndmask_b32_e64 v32, 0, 0xffffff80, vcc_lo
	v_ldexp_f64 v[10:11], v[10:11], v14
	v_rsq_f64_e32 v[14:15], v[10:11]
	v_cmp_class_f64_e64 vcc_lo, v[10:11], 0x260
	v_mul_f64 v[43:44], v[10:11], v[14:15]
	v_mul_f64 v[14:15], v[14:15], 0.5
	v_fma_f64 v[45:46], -v[14:15], v[43:44], 0.5
	v_fma_f64 v[43:44], v[43:44], v[45:46], v[43:44]
	v_fma_f64 v[14:15], v[14:15], v[45:46], v[14:15]
	v_fma_f64 v[45:46], -v[43:44], v[43:44], v[10:11]
	v_fma_f64 v[43:44], v[45:46], v[14:15], v[43:44]
	v_fma_f64 v[45:46], -v[43:44], v[43:44], v[10:11]
	v_fma_f64 v[14:15], v[45:46], v[14:15], v[43:44]
                                        ; implicit-def: $vgpr45_vgpr46
                                        ; implicit-def: $vgpr43_vgpr44
	v_ldexp_f64 v[14:15], v[14:15], v32
	v_cndmask_b32_e32 v11, v15, v11, vcc_lo
	v_cndmask_b32_e32 v10, v14, v10, vcc_lo
	v_mul_f64 v[14:15], v[41:42], v[41:42]
	v_cmp_ngt_f64_e32 vcc_lo, 0x40180000, v[10:11]
	v_add_f64 v[49:50], v[14:15], -v[8:9]
	v_mul_f64 v[8:9], v[41:42], v[39:40]
	v_add_f64 v[47:48], v[8:9], v[8:9]
	s_clause 0x2
	global_load_ushort v85, v[12:13], off offset:64
	global_load_dwordx4 v[8:11], v[12:13], off offset:48
	global_load_dwordx4 v[12:15], v[12:13], off offset:32
	s_and_saveexec_b32 s4, vcc_lo
	s_xor_b32 s4, exec_lo, s4
	s_cbranch_execz .LBB0_90
; %bb.89:                               ;   in Loop: Header=BB0_88 Depth=2
	s_mov_b32 s12, 0xafdb7b46
	s_mov_b32 s13, 0xbfd19dc7
	v_mul_f64 v[45:46], v[47:48], v[47:48]
	v_add_f64 v[43:44], v[49:50], s[12:13]
	v_mul_f64 v[51:52], v[47:48], 0
	s_mov_b32 s12, 0xa049097
	s_mov_b32 s13, 0xc005cc47
	v_add_f64 v[49:50], v[49:50], s[12:13]
	v_fma_f64 v[53:54], v[43:44], v[43:44], v[45:46]
	v_fma_f64 v[55:56], v[43:44], s[8:9], v[51:52]
	;; [unrolled: 1-line block ×4, first 2 shown]
	v_div_scale_f64 v[57:58], null, v[53:54], v[53:54], v[55:56]
	v_rcp_f64_e32 v[59:60], v[57:58]
	v_fma_f64 v[61:62], -v[57:58], v[59:60], 1.0
	v_fma_f64 v[59:60], v[59:60], v[61:62], v[59:60]
	v_fma_f64 v[61:62], -v[57:58], v[59:60], 1.0
	v_fma_f64 v[59:60], v[59:60], v[61:62], v[59:60]
	v_div_scale_f64 v[61:62], vcc_lo, v[55:56], v[53:54], v[55:56]
	v_mul_f64 v[63:64], v[61:62], v[59:60]
	v_fma_f64 v[57:58], -v[57:58], v[63:64], v[61:62]
	v_div_fmas_f64 v[57:58], v[57:58], v[59:60], v[63:64]
	v_mul_f64 v[59:60], v[47:48], s[8:9]
	v_mul_f64 v[47:48], v[47:48], s[10:11]
	v_div_fixup_f64 v[55:56], v[57:58], v[53:54], v[55:56]
	v_fma_f64 v[43:44], v[43:44], 0, -v[59:60]
	v_fma_f64 v[47:48], v[49:50], 0, -v[47:48]
	v_div_scale_f64 v[59:60], null, v[53:54], v[53:54], v[43:44]
	v_div_scale_f64 v[49:50], null, v[45:46], v[45:46], v[47:48]
	v_rcp_f64_e32 v[61:62], v[59:60]
	v_fma_f64 v[63:64], -v[59:60], v[61:62], 1.0
	v_fma_f64 v[61:62], v[61:62], v[63:64], v[61:62]
	v_fma_f64 v[63:64], -v[59:60], v[61:62], 1.0
	v_fma_f64 v[61:62], v[61:62], v[63:64], v[61:62]
	v_div_scale_f64 v[63:64], vcc_lo, v[43:44], v[53:54], v[43:44]
	v_mul_f64 v[65:66], v[63:64], v[61:62]
	v_fma_f64 v[59:60], -v[59:60], v[65:66], v[63:64]
	v_div_fmas_f64 v[59:60], v[59:60], v[61:62], v[65:66]
	v_div_scale_f64 v[61:62], null, v[45:46], v[45:46], v[51:52]
	v_div_fixup_f64 v[43:44], v[59:60], v[53:54], v[43:44]
	v_rcp_f64_e32 v[63:64], v[61:62]
	v_fma_f64 v[65:66], -v[61:62], v[63:64], 1.0
	v_fma_f64 v[63:64], v[63:64], v[65:66], v[63:64]
	v_fma_f64 v[65:66], -v[61:62], v[63:64], 1.0
	v_fma_f64 v[63:64], v[63:64], v[65:66], v[63:64]
	v_div_scale_f64 v[65:66], vcc_lo, v[51:52], v[45:46], v[51:52]
	v_mul_f64 v[67:68], v[65:66], v[63:64]
	v_fma_f64 v[61:62], -v[61:62], v[67:68], v[65:66]
	v_div_fmas_f64 v[61:62], v[61:62], v[63:64], v[67:68]
	v_rcp_f64_e32 v[63:64], v[49:50]
	v_fma_f64 v[65:66], -v[49:50], v[63:64], 1.0
	v_fma_f64 v[63:64], v[63:64], v[65:66], v[63:64]
	v_fma_f64 v[65:66], -v[49:50], v[63:64], 1.0
	v_fma_f64 v[63:64], v[63:64], v[65:66], v[63:64]
	v_div_scale_f64 v[65:66], vcc_lo, v[47:48], v[45:46], v[47:48]
	v_mul_f64 v[67:68], v[65:66], v[63:64]
	v_fma_f64 v[49:50], -v[49:50], v[67:68], v[65:66]
	v_div_fmas_f64 v[49:50], v[49:50], v[63:64], v[67:68]
	v_div_fixup_f64 v[47:48], v[49:50], v[45:46], v[47:48]
	v_div_fixup_f64 v[45:46], v[61:62], v[45:46], v[51:52]
	v_add_f64 v[43:44], v[43:44], v[47:48]
	v_fma_f64 v[47:48], v[39:40], 0, v[41:42]
	v_fma_f64 v[39:40], v[41:42], 0, -v[39:40]
	v_add_f64 v[41:42], v[55:56], v[45:46]
	v_mul_f64 v[45:46], v[47:48], v[43:44]
	v_mul_f64 v[49:50], v[39:40], v[43:44]
	v_fma_f64 v[43:44], v[39:40], v[41:42], -v[45:46]
	v_fma_f64 v[45:46], v[47:48], v[41:42], v[49:50]
                                        ; implicit-def: $vgpr39_vgpr40
                                        ; implicit-def: $vgpr41_vgpr42
                                        ; implicit-def: $vgpr47_vgpr48
                                        ; implicit-def: $vgpr49_vgpr50
.LBB0_90:                               ;   in Loop: Header=BB0_88 Depth=2
	s_andn2_saveexec_b32 s23, s4
	s_cbranch_execz .LBB0_87
; %bb.91:                               ;   in Loop: Header=BB0_88 Depth=2
	v_mul_f64 v[43:44], v[39:40], 0
                                        ; implicit-def: $vgpr86
                                        ; implicit-def: $vgpr51_vgpr52
                                        ; implicit-def: $vgpr53_vgpr54
	v_fma_f64 v[45:46], 0x40280000, v[41:42], v[43:44]
	v_cmp_gt_f64_e64 vcc_lo, 0x41d00000, |v[45:46]|
	v_cmp_ngt_f64_e64 s20, 0x41d00000, |v[45:46]|
	v_trig_preop_f64 v[61:62], |v[45:46]|, 0
	v_trig_preop_f64 v[59:60], |v[45:46]|, 1
	v_ldexp_f64 v[63:64], |v[45:46]|, 0xffffff80
	v_trig_preop_f64 v[65:66], |v[45:46]|, 2
	v_and_b32_e32 v71, 0x7fffffff, v46
	s_and_saveexec_b32 s4, s20
	s_xor_b32 s21, exec_lo, s4
	s_cbranch_execz .LBB0_93
; %bb.92:                               ;   in Loop: Header=BB0_88 Depth=2
	v_ldexp_f64 v[51:52], |v[45:46]|, 0xffffff80
	v_cmp_le_f64_e64 s4, 0x7b000000, |v[45:46]|
	v_trig_preop_f64 v[53:54], |v[45:46]|, 0
	v_trig_preop_f64 v[57:58], |v[45:46]|, 1
	;; [unrolled: 1-line block ×3, first 2 shown]
	v_cndmask_b32_e64 v52, v71, v52, s4
	v_cndmask_b32_e64 v51, v45, v51, s4
	v_mul_f64 v[55:56], v[53:54], v[51:52]
	v_mul_f64 v[67:68], v[57:58], v[51:52]
	;; [unrolled: 1-line block ×3, first 2 shown]
	v_fma_f64 v[53:54], v[53:54], v[51:52], -v[55:56]
	v_fma_f64 v[57:58], v[57:58], v[51:52], -v[67:68]
	;; [unrolled: 1-line block ×3, first 2 shown]
	v_add_f64 v[69:70], v[67:68], v[53:54]
	v_add_f64 v[74:75], v[69:70], -v[67:68]
	v_add_f64 v[53:54], v[53:54], -v[74:75]
	;; [unrolled: 1-line block ×4, first 2 shown]
	v_add_f64 v[74:75], v[72:73], v[57:58]
	v_add_f64 v[53:54], v[53:54], v[67:68]
	v_add_f64 v[76:77], v[74:75], -v[72:73]
	v_add_f64 v[67:68], v[74:75], v[53:54]
	v_add_f64 v[57:58], v[57:58], -v[76:77]
	v_add_f64 v[76:77], v[74:75], -v[76:77]
	;; [unrolled: 1-line block ×3, first 2 shown]
	v_add_f64 v[57:58], v[57:58], v[72:73]
	v_add_f64 v[72:73], v[67:68], -v[74:75]
	v_add_f64 v[53:54], v[53:54], -v[72:73]
	v_add_f64 v[72:73], v[67:68], -v[72:73]
	v_add_f64 v[72:73], v[74:75], -v[72:73]
	v_add_f64 v[74:75], v[55:56], v[69:70]
	v_add_f64 v[53:54], v[53:54], v[72:73]
	v_add_f64 v[55:56], v[74:75], -v[55:56]
	v_ldexp_f64 v[74:75], v[74:75], -2
	v_add_f64 v[53:54], v[57:58], v[53:54]
	v_add_f64 v[55:56], v[69:70], -v[55:56]
	v_fract_f64_e32 v[76:77], v[74:75]
	v_cmp_neq_f64_e64 s4, 0x7ff00000, |v[74:75]|
	v_add_f64 v[51:52], v[51:52], v[53:54]
	v_add_f64 v[57:58], v[55:56], v[67:68]
	v_ldexp_f64 v[76:77], v[76:77], 2
	v_add_f64 v[55:56], v[57:58], -v[55:56]
	v_cndmask_b32_e64 v70, 0, v77, s4
	v_cndmask_b32_e64 v69, 0, v76, s4
	v_add_f64 v[53:54], v[57:58], v[69:70]
	v_add_f64 v[55:56], v[67:68], -v[55:56]
	v_cmp_gt_f64_e64 s4, 0, v[53:54]
	v_add_f64 v[51:52], v[55:56], v[51:52]
	v_cndmask_b32_e64 v32, 0, 0x40100000, s4
	v_add_f64 v[53:54], v[69:70], v[31:32]
	v_add_f64 v[67:68], v[57:58], v[53:54]
	v_cvt_i32_f64_e32 v69, v[67:68]
	v_cvt_f64_i32_e32 v[67:68], v69
	v_add_f64 v[53:54], v[53:54], -v[67:68]
	v_add_f64 v[55:56], v[57:58], v[53:54]
	v_add_f64 v[53:54], v[55:56], -v[53:54]
	v_cmp_le_f64_e64 s4, 0.5, v[55:56]
	v_add_f64 v[53:54], v[57:58], -v[53:54]
	v_cndmask_b32_e64 v32, 0, 0x3ff00000, s4
	v_add_co_ci_u32_e64 v86, null, 0, v69, s4
	v_add_f64 v[55:56], v[55:56], -v[31:32]
	v_add_f64 v[51:52], v[51:52], v[53:54]
	v_add_f64 v[53:54], v[55:56], v[51:52]
	v_add_f64 v[55:56], v[53:54], -v[55:56]
	v_add_f64 v[51:52], v[51:52], -v[55:56]
	v_mul_f64 v[55:56], v[53:54], s[72:73]
	v_fma_f64 v[57:58], v[53:54], s[72:73], -v[55:56]
	v_fma_f64 v[53:54], v[53:54], s[24:25], v[57:58]
	v_fma_f64 v[53:54], v[51:52], s[72:73], v[53:54]
	v_add_f64 v[51:52], v[55:56], v[53:54]
	v_add_f64 v[55:56], v[51:52], -v[55:56]
	v_add_f64 v[53:54], v[53:54], -v[55:56]
	s_andn2_saveexec_b32 s21, s21
	s_cbranch_execz .LBB0_95
	s_branch .LBB0_94
.LBB0_93:                               ;   in Loop: Header=BB0_88 Depth=2
	s_andn2_saveexec_b32 s21, s21
	s_cbranch_execz .LBB0_95
.LBB0_94:                               ;   in Loop: Header=BB0_88 Depth=2
	v_mul_f64 v[51:52], |v[45:46]|, s[76:77]
	s_mov_b32 s4, s72
	s_mov_b32 s74, s78
	;; [unrolled: 1-line block ×3, first 2 shown]
	v_rndne_f64_e32 v[55:56], v[51:52]
	v_fma_f64 v[51:52], v[55:56], s[4:5], |v[45:46]|
	v_mul_f64 v[53:54], v[55:56], s[78:79]
	v_cvt_i32_f64_e32 v86, v[55:56]
	v_fma_f64 v[67:68], v[55:56], s[78:79], v[51:52]
	v_add_f64 v[57:58], v[51:52], v[53:54]
	v_add_f64 v[51:52], v[51:52], -v[57:58]
	v_add_f64 v[57:58], v[57:58], -v[67:68]
	v_add_f64 v[51:52], v[51:52], v[53:54]
	v_fma_f64 v[53:54], v[55:56], s[74:75], v[53:54]
	v_add_f64 v[51:52], v[57:58], v[51:52]
	v_add_f64 v[51:52], v[51:52], -v[53:54]
	v_fma_f64 v[53:54], v[55:56], s[80:81], v[51:52]
	v_add_f64 v[51:52], v[67:68], v[53:54]
	v_add_f64 v[57:58], v[51:52], -v[67:68]
	v_add_f64 v[53:54], v[53:54], -v[57:58]
.LBB0_95:                               ;   in Loop: Header=BB0_88 Depth=2
	s_or_b32 exec_lo, exec_lo, s21
                                        ; implicit-def: $vgpr87
                                        ; implicit-def: $vgpr55_vgpr56
                                        ; implicit-def: $vgpr57_vgpr58
                                        ; implicit-def: $vgpr72
                                        ; implicit-def: $vgpr69_vgpr70
                                        ; implicit-def: $vgpr67_vgpr68
	s_and_saveexec_b32 s4, s20
	s_xor_b32 s20, exec_lo, s4
	s_cbranch_execz .LBB0_97
; %bb.96:                               ;   in Loop: Header=BB0_88 Depth=2
	v_ldexp_f64 v[63:64], |v[45:46]|, 0xffffff80
	v_cmp_le_f64_e64 s4, 0x7b000000, |v[45:46]|
	v_trig_preop_f64 v[61:62], |v[45:46]|, 0
	v_trig_preop_f64 v[59:60], |v[45:46]|, 1
	s_mov_b32 s74, s78
	s_mov_b32 s75, s25
	v_cndmask_b32_e64 v56, v71, v64, s4
	v_cndmask_b32_e64 v55, v45, v63, s4
	v_mul_f64 v[57:58], v[61:62], v[55:56]
	v_mul_f64 v[65:66], v[59:60], v[55:56]
	v_fma_f64 v[67:68], v[61:62], v[55:56], -v[57:58]
	v_add_f64 v[69:70], v[65:66], v[67:68]
	v_add_f64 v[72:73], v[69:70], -v[65:66]
	v_add_f64 v[67:68], v[67:68], -v[72:73]
	;; [unrolled: 1-line block ×4, first 2 shown]
	v_add_f64 v[67:68], v[67:68], v[72:73]
	v_fma_f64 v[72:73], v[59:60], v[55:56], -v[65:66]
	v_trig_preop_f64 v[65:66], |v[45:46]|, 2
	v_mul_f64 v[74:75], v[65:66], v[55:56]
	v_add_f64 v[76:77], v[74:75], v[72:73]
	v_fma_f64 v[55:56], v[65:66], v[55:56], -v[74:75]
	v_add_f64 v[78:79], v[76:77], -v[74:75]
	v_add_f64 v[72:73], v[72:73], -v[78:79]
	;; [unrolled: 1-line block ×4, first 2 shown]
	v_add_f64 v[72:73], v[72:73], v[78:79]
	v_add_f64 v[78:79], v[76:77], v[67:68]
	v_add_f64 v[87:88], v[78:79], -v[76:77]
	v_add_f64 v[67:68], v[67:68], -v[87:88]
	;; [unrolled: 1-line block ×4, first 2 shown]
	v_add_f64 v[87:88], v[57:58], v[69:70]
	v_add_f64 v[67:68], v[67:68], v[76:77]
	v_add_f64 v[57:58], v[87:88], -v[57:58]
	v_ldexp_f64 v[87:88], v[87:88], -2
	v_add_f64 v[67:68], v[72:73], v[67:68]
	v_add_f64 v[57:58], v[69:70], -v[57:58]
	v_fract_f64_e32 v[89:90], v[87:88]
	v_cmp_neq_f64_e64 s4, 0x7ff00000, |v[87:88]|
	v_add_f64 v[55:56], v[55:56], v[67:68]
	v_add_f64 v[72:73], v[57:58], v[78:79]
	v_ldexp_f64 v[89:90], v[89:90], 2
	v_add_f64 v[57:58], v[72:73], -v[57:58]
	v_cndmask_b32_e64 v70, 0, v90, s4
	v_cndmask_b32_e64 v69, 0, v89, s4
	v_add_f64 v[67:68], v[72:73], v[69:70]
	v_add_f64 v[57:58], v[78:79], -v[57:58]
	v_cmp_gt_f64_e64 s4, 0, v[67:68]
	v_add_f64 v[55:56], v[57:58], v[55:56]
	v_cndmask_b32_e64 v32, 0, 0x40100000, s4
	s_mov_b32 s4, s72
	v_add_f64 v[67:68], v[69:70], v[31:32]
	v_add_f64 v[69:70], v[72:73], v[67:68]
	v_cvt_i32_f64_e32 v80, v[69:70]
	v_cvt_f64_i32_e32 v[69:70], v80
	v_add_f64 v[67:68], v[67:68], -v[69:70]
	v_mul_f64 v[69:70], |v[45:46]|, s[76:77]
	v_add_f64 v[57:58], v[72:73], v[67:68]
	v_add_f64 v[67:68], v[57:58], -v[67:68]
	v_add_f64 v[67:68], v[72:73], -v[67:68]
	v_rndne_f64_e32 v[72:73], v[69:70]
	v_add_f64 v[55:56], v[55:56], v[67:68]
	v_fma_f64 v[69:70], v[72:73], s[4:5], |v[45:46]|
	v_cmp_le_f64_e64 s4, 0.5, v[57:58]
	v_mul_f64 v[74:75], v[72:73], s[78:79]
	v_fma_f64 v[78:79], v[72:73], s[78:79], v[69:70]
	v_cndmask_b32_e64 v32, 0, 0x3ff00000, s4
	v_add_f64 v[76:77], v[69:70], v[74:75]
	v_add_co_ci_u32_e64 v87, null, 0, v80, s4
	v_add_f64 v[57:58], v[57:58], -v[31:32]
	v_add_f64 v[69:70], v[69:70], -v[76:77]
	;; [unrolled: 1-line block ×3, first 2 shown]
	v_add_f64 v[67:68], v[57:58], v[55:56]
	v_add_f64 v[69:70], v[69:70], v[74:75]
	v_fma_f64 v[74:75], v[72:73], s[74:75], v[74:75]
	v_add_f64 v[57:58], v[67:68], -v[57:58]
	v_add_f64 v[69:70], v[76:77], v[69:70]
	v_add_f64 v[55:56], v[55:56], -v[57:58]
	v_mul_f64 v[57:58], v[67:68], s[72:73]
	v_add_f64 v[69:70], v[69:70], -v[74:75]
	v_fma_f64 v[76:77], v[67:68], s[72:73], -v[57:58]
	v_fma_f64 v[67:68], v[67:68], s[24:25], v[76:77]
	v_fma_f64 v[74:75], v[55:56], s[72:73], v[67:68]
	;; [unrolled: 1-line block ×3, first 2 shown]
	v_cvt_i32_f64_e32 v72, v[72:73]
	v_add_f64 v[69:70], v[78:79], v[55:56]
	v_add_f64 v[67:68], v[69:70], -v[78:79]
	v_add_f64 v[67:68], v[55:56], -v[67:68]
	v_add_f64 v[55:56], v[57:58], v[74:75]
	v_add_f64 v[57:58], v[55:56], -v[57:58]
	v_add_f64 v[57:58], v[74:75], -v[57:58]
	s_andn2_saveexec_b32 s20, s20
	s_cbranch_execnz .LBB0_98
	s_branch .LBB0_99
.LBB0_97:                               ;   in Loop: Header=BB0_88 Depth=2
	s_andn2_saveexec_b32 s20, s20
	s_cbranch_execz .LBB0_99
.LBB0_98:                               ;   in Loop: Header=BB0_88 Depth=2
	v_mul_f64 v[55:56], |v[45:46]|, s[76:77]
	s_mov_b32 s4, s72
	s_mov_b32 s74, s78
	;; [unrolled: 1-line block ×3, first 2 shown]
	v_rndne_f64_e32 v[55:56], v[55:56]
	v_fma_f64 v[57:58], v[55:56], s[4:5], |v[45:46]|
	v_mul_f64 v[67:68], v[55:56], s[78:79]
	v_fma_f64 v[72:73], v[55:56], s[78:79], v[57:58]
	v_add_f64 v[69:70], v[57:58], v[67:68]
	v_add_f64 v[57:58], v[57:58], -v[69:70]
	v_add_f64 v[69:70], v[69:70], -v[72:73]
	v_add_f64 v[57:58], v[57:58], v[67:68]
	v_fma_f64 v[67:68], v[55:56], s[74:75], v[67:68]
	v_add_f64 v[57:58], v[69:70], v[57:58]
	v_add_f64 v[57:58], v[57:58], -v[67:68]
	v_fma_f64 v[57:58], v[55:56], s[80:81], v[57:58]
	v_add_f64 v[69:70], v[72:73], v[57:58]
	v_add_f64 v[67:68], v[69:70], -v[72:73]
	v_cvt_i32_f64_e32 v72, v[55:56]
	v_mov_b32_e32 v55, v69
	v_mov_b32_e32 v56, v70
	v_add_f64 v[67:68], v[57:58], -v[67:68]
	v_mov_b32_e32 v87, v72
	v_mov_b32_e32 v57, v67
	;; [unrolled: 1-line block ×3, first 2 shown]
.LBB0_99:                               ;   in Loop: Header=BB0_88 Depth=2
	s_or_b32 exec_lo, exec_lo, s20
	v_cmp_le_f64_e64 s4, 0x7b000000, |v[45:46]|
	s_mov_b32 s92, s18
	s_mov_b64 s[20:21], 0
	v_cndmask_b32_e64 v64, v71, v64, s4
	v_cndmask_b32_e64 v63, v45, v63, s4
	v_mul_f64 v[73:74], v[63:64], v[61:62]
	v_mul_f64 v[75:76], v[59:60], v[63:64]
	;; [unrolled: 1-line block ×3, first 2 shown]
	v_fma_f64 v[61:62], v[61:62], v[63:64], -v[73:74]
	v_fma_f64 v[59:60], v[59:60], v[63:64], -v[75:76]
	v_fma_f64 v[63:64], v[65:66], v[63:64], -v[77:78]
	v_add_f64 v[65:66], v[75:76], v[61:62]
	v_add_f64 v[79:80], v[65:66], -v[75:76]
	v_add_f64 v[61:62], v[61:62], -v[79:80]
	;; [unrolled: 1-line block ×4, first 2 shown]
	v_add_f64 v[79:80], v[77:78], v[59:60]
	v_add_f64 v[61:62], v[61:62], v[75:76]
	v_add_f64 v[88:89], v[79:80], -v[77:78]
	v_add_f64 v[75:76], v[79:80], v[61:62]
	v_add_f64 v[59:60], v[59:60], -v[88:89]
	v_add_f64 v[88:89], v[79:80], -v[88:89]
	;; [unrolled: 1-line block ×3, first 2 shown]
	v_add_f64 v[59:60], v[59:60], v[77:78]
	v_add_f64 v[77:78], v[75:76], -v[79:80]
	v_add_f64 v[61:62], v[61:62], -v[77:78]
	;; [unrolled: 1-line block ×4, first 2 shown]
	v_add_f64 v[79:80], v[73:74], v[65:66]
	v_add_f64 v[61:62], v[61:62], v[77:78]
	v_add_f64 v[73:74], v[79:80], -v[73:74]
	v_ldexp_f64 v[79:80], v[79:80], -2
	v_add_f64 v[59:60], v[59:60], v[61:62]
	v_add_f64 v[65:66], v[65:66], -v[73:74]
	v_fract_f64_e32 v[88:89], v[79:80]
	v_cmp_neq_f64_e64 s4, 0x7ff00000, |v[79:80]|
	v_add_f64 v[59:60], v[63:64], v[59:60]
	v_add_f64 v[61:62], v[65:66], v[75:76]
	v_ldexp_f64 v[88:89], v[88:89], 2
	v_add_f64 v[65:66], v[61:62], -v[65:66]
	v_cndmask_b32_e64 v74, 0, v89, s4
	v_cndmask_b32_e64 v73, 0, v88, s4
	v_add_f64 v[63:64], v[61:62], v[73:74]
	v_add_f64 v[65:66], v[75:76], -v[65:66]
	v_cmp_gt_f64_e64 s4, 0, v[63:64]
	v_add_f64 v[59:60], v[65:66], v[59:60]
	v_cndmask_b32_e64 v32, 0, 0x40100000, s4
	v_add_f64 v[63:64], v[73:74], v[31:32]
	v_add_f64 v[73:74], v[61:62], v[63:64]
	v_cvt_i32_f64_e32 v71, v[73:74]
	v_cvt_f64_i32_e32 v[73:74], v71
	v_add_f64 v[63:64], v[63:64], -v[73:74]
	v_add_f64 v[65:66], v[61:62], v[63:64]
	v_add_f64 v[63:64], v[65:66], -v[63:64]
	v_cmp_le_f64_e64 s4, 0.5, v[65:66]
	v_add_f64 v[61:62], v[61:62], -v[63:64]
	v_cndmask_b32_e64 v32, 0, 0x3ff00000, s4
	v_add_f64 v[59:60], v[59:60], v[61:62]
	v_add_f64 v[61:62], v[65:66], -v[31:32]
	v_add_co_ci_u32_e64 v32, null, 0, v71, s4
	v_cmp_class_f64_e64 s4, v[45:46], 0x1f8
	v_cndmask_b32_e32 v32, v32, v72, vcc_lo
	v_add_f64 v[63:64], v[61:62], v[59:60]
	v_add_f64 v[61:62], v[63:64], -v[61:62]
	v_add_f64 v[59:60], v[59:60], -v[61:62]
	v_mul_f64 v[61:62], v[63:64], s[72:73]
	v_fma_f64 v[65:66], v[63:64], s[72:73], -v[61:62]
	v_fma_f64 v[63:64], v[63:64], s[24:25], v[65:66]
	v_fma_f64 v[59:60], v[59:60], s[72:73], v[63:64]
	v_add_f64 v[63:64], v[61:62], v[59:60]
	v_add_f64 v[61:62], v[63:64], -v[61:62]
	v_cndmask_b32_e32 v66, v64, v70, vcc_lo
	v_cndmask_b32_e32 v65, v63, v69, vcc_lo
	v_add_f64 v[59:60], v[59:60], -v[61:62]
	v_mul_f64 v[61:62], v[65:66], v[65:66]
	v_cndmask_b32_e32 v60, v60, v68, vcc_lo
	v_mul_f64 v[63:64], v[61:62], 0.5
	v_cndmask_b32_e32 v59, v59, v67, vcc_lo
	v_mul_f64 v[73:74], v[65:66], -v[61:62]
	v_mul_f64 v[75:76], v[59:60], 0.5
	v_add_f64 v[67:68], -v[63:64], 1.0
	v_add_f64 v[69:70], -v[67:68], 1.0
	v_add_f64 v[63:64], v[69:70], -v[63:64]
	v_fma_f64 v[69:70], v[61:62], s[96:97], s[94:95]
	v_fma_f64 v[63:64], v[65:66], -v[59:60], v[63:64]
	v_fma_f64 v[69:70], v[61:62], v[69:70], s[98:99]
	v_fma_f64 v[69:70], v[61:62], v[69:70], s[100:101]
	;; [unrolled: 1-line block ×4, first 2 shown]
	v_fma_f64 v[59:60], v[61:62], v[69:70], -v[59:60]
	v_fma_f64 v[69:70], v[61:62], s[84:85], s[82:83]
	v_fma_f64 v[59:60], v[73:74], s[92:93], v[59:60]
	;; [unrolled: 1-line block ×3, first 2 shown]
	v_add_f64 v[59:60], v[65:66], -v[59:60]
	v_fma_f64 v[69:70], v[61:62], v[69:70], s[88:89]
	v_fma_f64 v[69:70], v[61:62], v[69:70], s[90:91]
	;; [unrolled: 1-line block ×3, first 2 shown]
	v_mul_f64 v[61:62], v[61:62], v[61:62]
	v_fma_f64 v[61:62], v[61:62], v[69:70], v[63:64]
	v_mul_f64 v[63:64], 0x40620000, v[47:48]
	v_mul_f64 v[47:48], v[47:48], 0
	v_add_f64 v[61:62], v[67:68], v[61:62]
	v_fma_f64 v[63:64], v[49:50], 0, v[63:64]
	v_fma_f64 v[67:68], 0x40620000, v[49:50], -v[47:48]
	v_and_b32_e32 v47, 1, v32
	v_lshlrev_b32_e32 v32, 30, v32
	v_cmp_eq_u32_e32 vcc_lo, 0, v47
	v_xor_b32_e32 v47, 0x80000000, v60
	v_cndmask_b32_e32 v49, v59, v61, vcc_lo
	v_cndmask_b32_e32 v50, v61, v59, vcc_lo
	v_xor_b32_e32 v59, v32, v46
	v_cndmask_b32_e32 v48, v62, v60, vcc_lo
	v_cndmask_b32_e32 v47, v47, v62, vcc_lo
	v_and_b32_e32 v32, 0x80000000, v32
	v_cndmask_b32_e64 v49, 0, v49, s4
	v_and_b32_e32 v59, 0x80000000, v59
	v_add_f64 v[73:74], -v[63:64], 0
	v_mul_f64 v[63:64], 0x40280000, v[41:42]
	v_xor_b32_e32 v32, v47, v32
	v_cndmask_b32_e64 v47, 0, v50, s4
	v_xor_b32_e32 v48, v48, v59
	v_mul_f64 v[59:60], 0x40280000, v[39:40]
	v_cndmask_b32_e64 v50, 0x7ff80000, v32, s4
	v_cndmask_b32_e64 v48, 0x7ff80000, v48, s4
	v_mul_f64 v[75:76], v[73:74], v[73:74]
	v_fma_f64 v[61:62], v[41:42], 0, -v[59:60]
	v_fma_f64 v[61:62], 0x3f300000, v[61:62], 1.0
	v_mul_f64 v[61:62], v[61:62], v[61:62]
	v_mul_f64 v[61:62], v[61:62], v[61:62]
	;; [unrolled: 1-line block ×14, first 2 shown]
	v_fma_f64 v[69:70], v[49:50], 0, v[65:66]
	v_fma_f64 v[71:72], v[61:62], v[49:50], -v[47:48]
	v_mul_f64 v[65:66], v[41:42], 0
	v_mov_b32_e32 v47, 0
	v_mov_b32_e32 v49, 0
	;; [unrolled: 1-line block ×4, first 2 shown]
	v_mul_f64 v[77:78], v[69:70], 0
	v_mul_f64 v[79:80], v[71:72], 0
.LBB0_100:                              ;   Parent Loop BB0_34 Depth=1
                                        ;     Parent Loop BB0_88 Depth=2
                                        ; =>    This Inner Loop Header: Depth=3
	s_getpc_b64 s[74:75]
	s_add_u32 s74, s74, __const._Z14fast_nuclear_W9RSComplex.neg_1n@rel32@lo+4
	s_addc_u32 s75, s75, __const._Z14fast_nuclear_W9RSComplex.neg_1n@rel32@hi+12
	s_add_u32 s74, s74, s20
	s_addc_u32 s75, s75, s21
	s_getpc_b64 s[12:13]
	s_add_u32 s12, s12, __const._Z14fast_nuclear_W9RSComplex.denominator_left@rel32@lo+4
	s_addc_u32 s13, s13, __const._Z14fast_nuclear_W9RSComplex.denominator_left@rel32@hi+12
	s_load_dwordx2 s[74:75], s[74:75], 0x0
	s_add_u32 s12, s12, s20
	s_addc_u32 s13, s13, s21
	s_load_dwordx2 s[12:13], s[12:13], 0x0
	s_waitcnt lgkmcnt(0)
	v_fma_f64 v[88:89], v[71:72], s[74:75], -v[77:78]
	v_fma_f64 v[94:95], v[69:70], s[74:75], v[79:80]
	v_add_f64 v[90:91], s[12:13], -v[67:68]
	s_getpc_b64 s[12:13]
	s_add_u32 s12, s12, __const._Z14fast_nuclear_W9RSComplex.an@rel32@lo+4
	s_addc_u32 s13, s13, __const._Z14fast_nuclear_W9RSComplex.an@rel32@hi+12
	s_add_u32 s12, s12, s20
	s_addc_u32 s13, s13, s21
	s_add_u32 s20, s20, 8
	s_load_dwordx2 s[12:13], s[12:13], 0x0
	s_addc_u32 s21, s21, 0
	s_cmpk_eq_i32 s20, 0x50
	v_add_f64 v[88:89], v[88:89], -1.0
	v_mul_f64 v[92:93], v[90:91], v[88:89]
	v_mul_f64 v[88:89], v[73:74], v[88:89]
	v_fma_f64 v[92:93], v[73:74], v[94:95], v[92:93]
	v_fma_f64 v[88:89], v[90:91], v[94:95], -v[88:89]
	v_fma_f64 v[90:91], v[90:91], v[90:91], v[75:76]
	v_div_scale_f64 v[94:95], null, v[90:91], v[90:91], v[92:93]
	v_rcp_f64_e32 v[96:97], v[94:95]
	v_fma_f64 v[98:99], -v[94:95], v[96:97], 1.0
	v_fma_f64 v[96:97], v[96:97], v[98:99], v[96:97]
	v_fma_f64 v[98:99], -v[94:95], v[96:97], 1.0
	v_fma_f64 v[96:97], v[96:97], v[98:99], v[96:97]
	v_div_scale_f64 v[98:99], vcc_lo, v[92:93], v[90:91], v[92:93]
	v_mul_f64 v[100:101], v[98:99], v[96:97]
	v_fma_f64 v[94:95], -v[94:95], v[100:101], v[98:99]
	v_div_fmas_f64 v[94:95], v[94:95], v[96:97], v[100:101]
	v_div_scale_f64 v[96:97], null, v[90:91], v[90:91], v[88:89]
	v_div_fixup_f64 v[92:93], v[94:95], v[90:91], v[92:93]
	v_rcp_f64_e32 v[98:99], v[96:97]
	v_fma_f64 v[100:101], -v[96:97], v[98:99], 1.0
	v_fma_f64 v[98:99], v[98:99], v[100:101], v[98:99]
	v_fma_f64 v[100:101], -v[96:97], v[98:99], 1.0
	v_fma_f64 v[98:99], v[98:99], v[100:101], v[98:99]
	v_div_scale_f64 v[100:101], vcc_lo, v[88:89], v[90:91], v[88:89]
	v_mul_f64 v[102:103], v[100:101], v[98:99]
	v_fma_f64 v[96:97], -v[96:97], v[102:103], v[100:101]
	v_div_fmas_f64 v[96:97], v[96:97], v[98:99], v[102:103]
	v_div_fixup_f64 v[88:89], v[96:97], v[90:91], v[88:89]
	v_mul_f64 v[90:91], v[88:89], 0
	s_waitcnt lgkmcnt(0)
	v_mul_f64 v[88:89], s[12:13], v[88:89]
	v_fma_f64 v[90:91], s[12:13], v[92:93], -v[90:91]
	v_fma_f64 v[88:89], v[92:93], 0, v[88:89]
	v_add_f64 v[47:48], v[47:48], v[90:91]
	v_add_f64 v[49:50], v[49:50], v[88:89]
	s_cbranch_scc0 .LBB0_100
; %bb.101:                              ;   in Loop: Header=BB0_88 Depth=2
	v_mul_f64 v[67:68], v[51:52], v[51:52]
	v_mul_f64 v[75:76], v[53:54], 0.5
	v_mul_f64 v[88:89], v[57:58], 0.5
	s_mov_b32 s92, s18
	v_and_b32_e32 v32, 1, v87
	v_add_f64 v[43:44], v[63:64], -v[43:44]
	v_cmp_eq_u32_e32 vcc_lo, 0, v32
	v_mul_f64 v[69:70], v[67:68], 0.5
	v_mul_f64 v[77:78], v[51:52], -v[67:68]
	v_add_f64 v[71:72], -v[69:70], 1.0
	v_add_f64 v[73:74], -v[71:72], 1.0
	v_add_f64 v[69:70], v[73:74], -v[69:70]
	v_fma_f64 v[73:74], v[67:68], s[96:97], s[94:95]
	v_fma_f64 v[69:70], v[51:52], -v[53:54], v[69:70]
	v_fma_f64 v[73:74], v[67:68], v[73:74], s[98:99]
	v_fma_f64 v[73:74], v[67:68], v[73:74], s[100:101]
	v_fma_f64 v[73:74], v[67:68], v[73:74], s[102:103]
	v_fma_f64 v[73:74], v[77:78], v[73:74], v[75:76]
	v_fma_f64 v[53:54], v[67:68], v[73:74], -v[53:54]
	v_fma_f64 v[73:74], v[67:68], s[84:85], s[82:83]
	v_fma_f64 v[53:54], v[77:78], s[92:93], v[53:54]
	;; [unrolled: 1-line block ×3, first 2 shown]
	v_add_f64 v[51:52], v[51:52], -v[53:54]
	v_fma_f64 v[73:74], v[67:68], v[73:74], s[88:89]
	v_xor_b32_e32 v52, 0x80000000, v52
	v_fma_f64 v[73:74], v[67:68], v[73:74], s[90:91]
	v_fma_f64 v[73:74], v[67:68], v[73:74], s[18:19]
	v_mul_f64 v[67:68], v[67:68], v[67:68]
	v_fma_f64 v[67:68], v[67:68], v[73:74], v[69:70]
	v_mul_f64 v[69:70], v[55:56], v[55:56]
	v_add_f64 v[53:54], v[71:72], v[67:68]
	v_mul_f64 v[73:74], v[69:70], 0.5
	v_mul_f64 v[90:91], v[55:56], -v[69:70]
	v_add_f64 v[75:76], -v[73:74], 1.0
	v_add_f64 v[79:80], -v[75:76], 1.0
	v_add_f64 v[73:74], v[79:80], -v[73:74]
	v_fma_f64 v[79:80], v[69:70], s[96:97], s[94:95]
	v_fma_f64 v[73:74], v[55:56], -v[57:58], v[73:74]
	v_fma_f64 v[79:80], v[69:70], v[79:80], s[98:99]
	v_fma_f64 v[79:80], v[69:70], v[79:80], s[100:101]
	;; [unrolled: 1-line block ×4, first 2 shown]
	v_fma_f64 v[57:58], v[69:70], v[79:80], -v[57:58]
	v_fma_f64 v[79:80], v[69:70], s[84:85], s[82:83]
	v_fma_f64 v[57:58], v[90:91], s[92:93], v[57:58]
	;; [unrolled: 1-line block ×3, first 2 shown]
	v_add_f64 v[55:56], v[55:56], -v[57:58]
	v_fma_f64 v[79:80], v[69:70], v[79:80], s[88:89]
	v_fma_f64 v[79:80], v[69:70], v[79:80], s[90:91]
	;; [unrolled: 1-line block ×3, first 2 shown]
	v_mul_f64 v[69:70], v[69:70], v[69:70]
	v_fma_f64 v[69:70], v[69:70], v[79:80], v[73:74]
	v_add_f64 v[69:70], v[75:76], v[69:70]
	v_cndmask_b32_e32 v32, v69, v55, vcc_lo
	v_lshlrev_b32_e32 v55, 30, v87
	v_cndmask_b32_e32 v45, v70, v56, vcc_lo
	v_xor_b32_e32 v46, v55, v46
	v_and_b32_e32 v55, 1, v86
	v_and_b32_e32 v46, 0x80000000, v46
	v_cmp_eq_u32_e32 vcc_lo, 0, v55
	v_xor_b32_e32 v46, v45, v46
	v_lshlrev_b32_e32 v45, 30, v86
	v_cndmask_b32_e32 v52, v52, v54, vcc_lo
	v_cndmask_b32_e32 v51, v51, v53, vcc_lo
	v_cndmask_b32_e64 v46, 0x7ff80000, v46, s4
	v_and_b32_e32 v45, 0x80000000, v45
	v_cndmask_b32_e64 v51, 0, v51, s4
	v_xor_b32_e32 v52, v52, v45
	v_cndmask_b32_e64 v45, 0, v32, s4
	v_cndmask_b32_e64 v52, 0x7ff80000, v52, s4
	v_mul_f64 v[53:54], v[61:62], v[45:46]
	v_mul_f64 v[55:56], v[61:62], v[51:52]
	v_fma_f64 v[51:52], v[51:52], 0, v[53:54]
	v_add_f64 v[53:54], v[65:66], v[59:60]
	v_fma_f64 v[45:46], v[45:46], 0, -v[55:56]
	v_add_f64 v[51:52], -v[51:52], 0
	v_add_f64 v[45:46], v[45:46], 1.0
	v_fma_f64 v[55:56], v[51:52], 0, v[45:46]
	v_fma_f64 v[45:46], v[45:46], 0, -v[51:52]
	v_mul_f64 v[51:52], v[53:54], v[55:56]
	v_fma_f64 v[51:52], v[43:44], v[45:46], v[51:52]
	v_mul_f64 v[45:46], v[53:54], v[45:46]
	v_mul_f64 v[53:54], v[53:54], v[53:54]
	v_fma_f64 v[45:46], v[43:44], v[55:56], -v[45:46]
	v_fma_f64 v[43:44], v[43:44], v[43:44], v[53:54]
	v_div_scale_f64 v[53:54], null, v[43:44], v[43:44], v[51:52]
	v_rcp_f64_e32 v[55:56], v[53:54]
	v_fma_f64 v[57:58], -v[53:54], v[55:56], 1.0
	v_fma_f64 v[55:56], v[55:56], v[57:58], v[55:56]
	v_fma_f64 v[57:58], -v[53:54], v[55:56], 1.0
	v_fma_f64 v[55:56], v[55:56], v[57:58], v[55:56]
	v_div_scale_f64 v[57:58], vcc_lo, v[51:52], v[43:44], v[51:52]
	v_mul_f64 v[59:60], v[57:58], v[55:56]
	v_fma_f64 v[53:54], -v[53:54], v[59:60], v[57:58]
	v_div_fmas_f64 v[53:54], v[53:54], v[55:56], v[59:60]
	v_div_scale_f64 v[55:56], null, v[43:44], v[43:44], v[45:46]
	v_rcp_f64_e32 v[57:58], v[55:56]
	v_fma_f64 v[59:60], -v[55:56], v[57:58], 1.0
	v_fma_f64 v[57:58], v[57:58], v[59:60], v[57:58]
	v_fma_f64 v[59:60], -v[55:56], v[57:58], 1.0
	v_fma_f64 v[57:58], v[57:58], v[59:60], v[57:58]
	v_div_scale_f64 v[59:60], vcc_lo, v[45:46], v[43:44], v[45:46]
	v_mul_f64 v[61:62], v[59:60], v[57:58]
	v_fma_f64 v[55:56], -v[55:56], v[61:62], v[59:60]
	v_div_fmas_f64 v[55:56], v[55:56], v[57:58], v[61:62]
	v_mul_f64 v[57:58], v[39:40], v[47:48]
	v_mul_f64 v[39:40], v[39:40], v[49:50]
	v_div_fixup_f64 v[45:46], v[55:56], v[43:44], v[45:46]
	v_fma_f64 v[49:50], v[41:42], v[49:50], v[57:58]
	v_fma_f64 v[39:40], v[41:42], v[47:48], -v[39:40]
	v_div_fixup_f64 v[41:42], v[53:54], v[43:44], v[51:52]
	v_mul_f64 v[43:44], v[49:50], s[16:17]
	v_mul_f64 v[47:48], v[49:50], 0
	v_fma_f64 v[43:44], v[39:40], 0, -v[43:44]
	v_fma_f64 v[39:40], v[39:40], s[16:17], v[47:48]
	v_add_f64 v[43:44], v[41:42], v[43:44]
	v_add_f64 v[45:46], v[45:46], v[39:40]
	s_branch .LBB0_87
.LBB0_102:
	s_or_b32 exec_lo, exec_lo, s104
	v_readlane_b32 s22, v104, 17
	v_readlane_b32 s23, v104, 18
	;; [unrolled: 1-line block ×3, first 2 shown]
.LBB0_103:
	s_or_b32 exec_lo, exec_lo, s9
	v_max_f64 v[0:1], v[29:30], v[29:30]
	s_mov_b32 s4, -1
	s_mov_b32 s5, 0xffefffff
	v_ashrrev_i32_e32 v17, 31, v16
	v_mov_b32_e32 v5, 0
	v_max_f64 v[0:1], v[0:1], s[4:5]
	v_cmp_gt_f64_e32 vcc_lo, v[23:24], v[0:1]
	v_cndmask_b32_e32 v1, v1, v24, vcc_lo
	v_cndmask_b32_e32 v0, v0, v23, vcc_lo
	v_cndmask_b32_e64 v2, 1, 2, vcc_lo
	v_cmp_gt_f64_e64 s4, v[21:22], v[0:1]
	v_cndmask_b32_e64 v1, v1, v22, s4
	v_cndmask_b32_e64 v0, v0, v21, s4
	;; [unrolled: 1-line block ×3, first 2 shown]
	v_lshlrev_b64 v[2:3], 3, v[16:17]
	v_cmp_ngt_f64_e32 vcc_lo, v[19:20], v[0:1]
	v_cndmask_b32_e32 v4, 4, v4, vcc_lo
	v_add_co_u32 v0, vcc_lo, s22, v2
	v_add_co_ci_u32_e64 v1, null, s23, v3, vcc_lo
	global_store_dwordx2 v[0:1], v[4:5], off
.LBB0_104:
	s_endpgm
	.section	.rodata,"a",@progbits
	.p2align	6, 0x0
	.amdhsa_kernel _Z25xs_lookup_kernel_baseline5Input14SimulationData
		.amdhsa_group_segment_fixed_size 65536
		.amdhsa_private_segment_fixed_size 80
		.amdhsa_kernarg_size 496
		.amdhsa_user_sgpr_count 8
		.amdhsa_user_sgpr_private_segment_buffer 1
		.amdhsa_user_sgpr_dispatch_ptr 1
		.amdhsa_user_sgpr_queue_ptr 0
		.amdhsa_user_sgpr_kernarg_segment_ptr 1
		.amdhsa_user_sgpr_dispatch_id 0
		.amdhsa_user_sgpr_flat_scratch_init 0
		.amdhsa_user_sgpr_private_segment_size 0
		.amdhsa_wavefront_size32 1
		.amdhsa_uses_dynamic_stack 0
		.amdhsa_system_sgpr_private_segment_wavefront_offset 1
		.amdhsa_system_sgpr_workgroup_id_x 1
		.amdhsa_system_sgpr_workgroup_id_y 0
		.amdhsa_system_sgpr_workgroup_id_z 0
		.amdhsa_system_sgpr_workgroup_info 0
		.amdhsa_system_vgpr_workitem_id 2
		.amdhsa_next_free_vgpr 105
		.amdhsa_next_free_sgpr 105
		.amdhsa_reserve_vcc 1
		.amdhsa_reserve_flat_scratch 0
		.amdhsa_float_round_mode_32 0
		.amdhsa_float_round_mode_16_64 0
		.amdhsa_float_denorm_mode_32 3
		.amdhsa_float_denorm_mode_16_64 3
		.amdhsa_dx10_clamp 1
		.amdhsa_ieee_mode 1
		.amdhsa_fp16_overflow 0
		.amdhsa_workgroup_processor_mode 1
		.amdhsa_memory_ordered 1
		.amdhsa_forward_progress 1
		.amdhsa_shared_vgpr_count 0
		.amdhsa_exception_fp_ieee_invalid_op 0
		.amdhsa_exception_fp_denorm_src 0
		.amdhsa_exception_fp_ieee_div_zero 0
		.amdhsa_exception_fp_ieee_overflow 0
		.amdhsa_exception_fp_ieee_underflow 0
		.amdhsa_exception_fp_ieee_inexact 0
		.amdhsa_exception_int_div_zero 0
	.end_amdhsa_kernel
	.text
.Lfunc_end0:
	.size	_Z25xs_lookup_kernel_baseline5Input14SimulationData, .Lfunc_end0-_Z25xs_lookup_kernel_baseline5Input14SimulationData
                                        ; -- End function
	.set _Z25xs_lookup_kernel_baseline5Input14SimulationData.num_vgpr, 105
	.set _Z25xs_lookup_kernel_baseline5Input14SimulationData.num_agpr, 0
	.set _Z25xs_lookup_kernel_baseline5Input14SimulationData.numbered_sgpr, 105
	.set _Z25xs_lookup_kernel_baseline5Input14SimulationData.num_named_barrier, 0
	.set _Z25xs_lookup_kernel_baseline5Input14SimulationData.private_seg_size, 80
	.set _Z25xs_lookup_kernel_baseline5Input14SimulationData.uses_vcc, 1
	.set _Z25xs_lookup_kernel_baseline5Input14SimulationData.uses_flat_scratch, 0
	.set _Z25xs_lookup_kernel_baseline5Input14SimulationData.has_dyn_sized_stack, 0
	.set _Z25xs_lookup_kernel_baseline5Input14SimulationData.has_recursion, 0
	.set _Z25xs_lookup_kernel_baseline5Input14SimulationData.has_indirect_call, 0
	.section	.AMDGPU.csdata,"",@progbits
; Kernel info:
; codeLenInByte = 16164
; TotalNumSgprs: 107
; NumVgprs: 105
; ScratchSize: 80
; MemoryBound: 1
; FloatMode: 240
; IeeeMode: 1
; LDSByteSize: 65536 bytes/workgroup (compile time only)
; SGPRBlocks: 0
; VGPRBlocks: 13
; NumSGPRsForWavesPerEU: 107
; NumVGPRsForWavesPerEU: 105
; Occupancy: 9
; WaveLimiterHint : 1
; COMPUTE_PGM_RSRC2:SCRATCH_EN: 1
; COMPUTE_PGM_RSRC2:USER_SGPR: 8
; COMPUTE_PGM_RSRC2:TRAP_HANDLER: 0
; COMPUTE_PGM_RSRC2:TGID_X_EN: 1
; COMPUTE_PGM_RSRC2:TGID_Y_EN: 0
; COMPUTE_PGM_RSRC2:TGID_Z_EN: 0
; COMPUTE_PGM_RSRC2:TIDIG_COMP_CNT: 2
	.text
	.p2alignl 6, 3214868480
	.fill 48, 4, 3214868480
	.section	.AMDGPU.gpr_maximums,"",@progbits
	.set amdgpu.max_num_vgpr, 0
	.set amdgpu.max_num_agpr, 0
	.set amdgpu.max_num_sgpr, 0
	.text
	.type	__const._Z14fast_nuclear_W9RSComplex.an,@object ; @__const._Z14fast_nuclear_W9RSComplex.an
	.section	.rodata,"a",@progbits
	.p2align	4, 0x0
__const._Z14fast_nuclear_W9RSComplex.an:
	.quad	0x3fd1a75da77b03ac              ; double 0.27584019999999998
	.quad	0x3fccbed740c4156e              ; double 0.224574
	;; [unrolled: 1-line block ×9, first 2 shown]
	.quad	0x3f346e6a1e8a624d              ; double 3.1175700000000002E-4
	.size	__const._Z14fast_nuclear_W9RSComplex.an, 80

	.type	__const._Z14fast_nuclear_W9RSComplex.neg_1n,@object ; @__const._Z14fast_nuclear_W9RSComplex.neg_1n
	.p2align	4, 0x0
__const._Z14fast_nuclear_W9RSComplex.neg_1n:
	.quad	0xbff0000000000000              ; double -1
	.quad	0x3ff0000000000000              ; double 1
	.quad	0xbff0000000000000              ; double -1
	.quad	0x3ff0000000000000              ; double 1
	;; [unrolled: 2-line block ×5, first 2 shown]
	.size	__const._Z14fast_nuclear_W9RSComplex.neg_1n, 80

	.type	__const._Z14fast_nuclear_W9RSComplex.denominator_left,@object ; @__const._Z14fast_nuclear_W9RSComplex.denominator_left
	.p2align	4, 0x0
__const._Z14fast_nuclear_W9RSComplex.denominator_left:
	.quad	0x4023bd3cbc48f10b              ; double 9.8696040000000007
	.quad	0x4043bd3cddd6e04c              ; double 39.47842
	;; [unrolled: 1-line block ×10, first 2 shown]
	.size	__const._Z14fast_nuclear_W9RSComplex.denominator_left, 80

	.type	__hip_cuid_1b90c834ba17a983,@object ; @__hip_cuid_1b90c834ba17a983
	.section	.bss,"aw",@nobits
	.globl	__hip_cuid_1b90c834ba17a983
__hip_cuid_1b90c834ba17a983:
	.byte	0                               ; 0x0
	.size	__hip_cuid_1b90c834ba17a983, 1

	.ident	"AMD clang version 22.0.0git (https://github.com/RadeonOpenCompute/llvm-project roc-7.2.4 26084 f58b06dce1f9c15707c5f808fd002e18c2accf7e)"
	.section	".note.GNU-stack","",@progbits
	.addrsig
	.addrsig_sym __hip_cuid_1b90c834ba17a983
	.amdgpu_metadata
---
amdhsa.kernels:
  - .args:
      - .offset:         0
        .size:           44
        .value_kind:     by_value
      - .offset:         48
        .size:           192
        .value_kind:     by_value
      - .offset:         240
        .size:           4
        .value_kind:     hidden_block_count_x
      - .offset:         244
        .size:           4
        .value_kind:     hidden_block_count_y
      - .offset:         248
        .size:           4
        .value_kind:     hidden_block_count_z
      - .offset:         252
        .size:           2
        .value_kind:     hidden_group_size_x
      - .offset:         254
        .size:           2
        .value_kind:     hidden_group_size_y
      - .offset:         256
        .size:           2
        .value_kind:     hidden_group_size_z
      - .offset:         258
        .size:           2
        .value_kind:     hidden_remainder_x
      - .offset:         260
        .size:           2
        .value_kind:     hidden_remainder_y
      - .offset:         262
        .size:           2
        .value_kind:     hidden_remainder_z
      - .offset:         280
        .size:           8
        .value_kind:     hidden_global_offset_x
      - .offset:         288
        .size:           8
        .value_kind:     hidden_global_offset_y
      - .offset:         296
        .size:           8
        .value_kind:     hidden_global_offset_z
      - .offset:         304
        .size:           2
        .value_kind:     hidden_grid_dims
    .group_segment_fixed_size: 65536
    .kernarg_segment_align: 8
    .kernarg_segment_size: 496
    .language:       OpenCL C
    .language_version:
      - 2
      - 0
    .max_flat_workgroup_size: 1024
    .name:           _Z25xs_lookup_kernel_baseline5Input14SimulationData
    .private_segment_fixed_size: 80
    .sgpr_count:     107
    .sgpr_spill_count: 20
    .symbol:         _Z25xs_lookup_kernel_baseline5Input14SimulationData.kd
    .uniform_work_group_size: 1
    .uses_dynamic_stack: false
    .vgpr_count:     105
    .vgpr_spill_count: 0
    .wavefront_size: 32
    .workgroup_processor_mode: 1
amdhsa.target:   amdgcn-amd-amdhsa--gfx1030
amdhsa.version:
  - 1
  - 2
...

	.end_amdgpu_metadata
